;; amdgpu-corpus repo=ROCm/rocFFT kind=compiled arch=gfx906 opt=O3
	.text
	.amdgcn_target "amdgcn-amd-amdhsa--gfx906"
	.amdhsa_code_object_version 6
	.protected	fft_rtc_fwd_len1430_factors_13_11_10_wgs_143_tpt_143_dp_op_CI_CI_unitstride_sbrr_R2C_dirReg ; -- Begin function fft_rtc_fwd_len1430_factors_13_11_10_wgs_143_tpt_143_dp_op_CI_CI_unitstride_sbrr_R2C_dirReg
	.globl	fft_rtc_fwd_len1430_factors_13_11_10_wgs_143_tpt_143_dp_op_CI_CI_unitstride_sbrr_R2C_dirReg
	.p2align	8
	.type	fft_rtc_fwd_len1430_factors_13_11_10_wgs_143_tpt_143_dp_op_CI_CI_unitstride_sbrr_R2C_dirReg,@function
fft_rtc_fwd_len1430_factors_13_11_10_wgs_143_tpt_143_dp_op_CI_CI_unitstride_sbrr_R2C_dirReg: ; @fft_rtc_fwd_len1430_factors_13_11_10_wgs_143_tpt_143_dp_op_CI_CI_unitstride_sbrr_R2C_dirReg
; %bb.0:
	s_load_dwordx4 s[8:11], s[4:5], 0x58
	s_load_dwordx4 s[12:15], s[4:5], 0x0
	;; [unrolled: 1-line block ×3, first 2 shown]
	v_mul_u32_u24_e32 v1, 0x1cb, v0
	v_add_u32_sdwa v5, s6, v1 dst_sel:DWORD dst_unused:UNUSED_PAD src0_sel:DWORD src1_sel:WORD_1
	v_mov_b32_e32 v3, 0
	s_waitcnt lgkmcnt(0)
	v_cmp_lt_u64_e64 s[0:1], s[14:15], 2
	v_mov_b32_e32 v1, 0
	v_mov_b32_e32 v6, v3
	s_and_b64 vcc, exec, s[0:1]
	v_mov_b32_e32 v2, 0
	s_cbranch_vccnz .LBB0_8
; %bb.1:
	s_load_dwordx2 s[0:1], s[4:5], 0x10
	s_add_u32 s2, s18, 8
	s_addc_u32 s3, s19, 0
	s_add_u32 s6, s16, 8
	v_mov_b32_e32 v1, 0
	s_addc_u32 s7, s17, 0
	v_mov_b32_e32 v2, 0
	s_waitcnt lgkmcnt(0)
	s_add_u32 s20, s0, 8
	v_mov_b32_e32 v49, v2
	s_addc_u32 s21, s1, 0
	s_mov_b64 s[22:23], 1
	v_mov_b32_e32 v48, v1
.LBB0_2:                                ; =>This Inner Loop Header: Depth=1
	s_load_dwordx2 s[24:25], s[20:21], 0x0
                                        ; implicit-def: $vgpr52_vgpr53
	s_waitcnt lgkmcnt(0)
	v_or_b32_e32 v4, s25, v6
	v_cmp_ne_u64_e32 vcc, 0, v[3:4]
	s_and_saveexec_b64 s[0:1], vcc
	s_xor_b64 s[26:27], exec, s[0:1]
	s_cbranch_execz .LBB0_4
; %bb.3:                                ;   in Loop: Header=BB0_2 Depth=1
	v_cvt_f32_u32_e32 v4, s24
	v_cvt_f32_u32_e32 v7, s25
	s_sub_u32 s0, 0, s24
	s_subb_u32 s1, 0, s25
	v_mac_f32_e32 v4, 0x4f800000, v7
	v_rcp_f32_e32 v4, v4
	v_mul_f32_e32 v4, 0x5f7ffffc, v4
	v_mul_f32_e32 v7, 0x2f800000, v4
	v_trunc_f32_e32 v7, v7
	v_mac_f32_e32 v4, 0xcf800000, v7
	v_cvt_u32_f32_e32 v7, v7
	v_cvt_u32_f32_e32 v4, v4
	v_mul_lo_u32 v8, s0, v7
	v_mul_hi_u32 v9, s0, v4
	v_mul_lo_u32 v11, s1, v4
	v_mul_lo_u32 v10, s0, v4
	v_add_u32_e32 v8, v9, v8
	v_add_u32_e32 v8, v8, v11
	v_mul_hi_u32 v9, v4, v10
	v_mul_lo_u32 v11, v4, v8
	v_mul_hi_u32 v13, v4, v8
	v_mul_hi_u32 v12, v7, v10
	v_mul_lo_u32 v10, v7, v10
	v_mul_hi_u32 v14, v7, v8
	v_add_co_u32_e32 v9, vcc, v9, v11
	v_addc_co_u32_e32 v11, vcc, 0, v13, vcc
	v_mul_lo_u32 v8, v7, v8
	v_add_co_u32_e32 v9, vcc, v9, v10
	v_addc_co_u32_e32 v9, vcc, v11, v12, vcc
	v_addc_co_u32_e32 v10, vcc, 0, v14, vcc
	v_add_co_u32_e32 v8, vcc, v9, v8
	v_addc_co_u32_e32 v9, vcc, 0, v10, vcc
	v_add_co_u32_e32 v4, vcc, v4, v8
	v_addc_co_u32_e32 v7, vcc, v7, v9, vcc
	v_mul_lo_u32 v8, s0, v7
	v_mul_hi_u32 v9, s0, v4
	v_mul_lo_u32 v10, s1, v4
	v_mul_lo_u32 v11, s0, v4
	v_add_u32_e32 v8, v9, v8
	v_add_u32_e32 v8, v8, v10
	v_mul_lo_u32 v12, v4, v8
	v_mul_hi_u32 v13, v4, v11
	v_mul_hi_u32 v14, v4, v8
	v_mul_hi_u32 v10, v7, v11
	v_mul_lo_u32 v11, v7, v11
	v_mul_hi_u32 v9, v7, v8
	v_add_co_u32_e32 v12, vcc, v13, v12
	v_addc_co_u32_e32 v13, vcc, 0, v14, vcc
	v_mul_lo_u32 v8, v7, v8
	v_add_co_u32_e32 v11, vcc, v12, v11
	v_addc_co_u32_e32 v10, vcc, v13, v10, vcc
	v_addc_co_u32_e32 v9, vcc, 0, v9, vcc
	v_add_co_u32_e32 v8, vcc, v10, v8
	v_addc_co_u32_e32 v9, vcc, 0, v9, vcc
	v_add_co_u32_e32 v4, vcc, v4, v8
	v_addc_co_u32_e32 v9, vcc, v7, v9, vcc
	v_mad_u64_u32 v[7:8], s[0:1], v5, v9, 0
	v_mul_hi_u32 v10, v5, v4
	v_add_co_u32_e32 v11, vcc, v10, v7
	v_addc_co_u32_e32 v12, vcc, 0, v8, vcc
	v_mad_u64_u32 v[7:8], s[0:1], v6, v4, 0
	v_mad_u64_u32 v[9:10], s[0:1], v6, v9, 0
	v_add_co_u32_e32 v4, vcc, v11, v7
	v_addc_co_u32_e32 v4, vcc, v12, v8, vcc
	v_addc_co_u32_e32 v7, vcc, 0, v10, vcc
	v_add_co_u32_e32 v4, vcc, v4, v9
	v_addc_co_u32_e32 v9, vcc, 0, v7, vcc
	v_mul_lo_u32 v10, s25, v4
	v_mul_lo_u32 v11, s24, v9
	v_mad_u64_u32 v[7:8], s[0:1], s24, v4, 0
	v_add3_u32 v8, v8, v11, v10
	v_sub_u32_e32 v10, v6, v8
	v_mov_b32_e32 v11, s25
	v_sub_co_u32_e32 v7, vcc, v5, v7
	v_subb_co_u32_e64 v10, s[0:1], v10, v11, vcc
	v_subrev_co_u32_e64 v11, s[0:1], s24, v7
	v_subbrev_co_u32_e64 v10, s[0:1], 0, v10, s[0:1]
	v_cmp_le_u32_e64 s[0:1], s25, v10
	v_cndmask_b32_e64 v12, 0, -1, s[0:1]
	v_cmp_le_u32_e64 s[0:1], s24, v11
	v_cndmask_b32_e64 v11, 0, -1, s[0:1]
	v_cmp_eq_u32_e64 s[0:1], s25, v10
	v_cndmask_b32_e64 v10, v12, v11, s[0:1]
	v_add_co_u32_e64 v11, s[0:1], 2, v4
	v_addc_co_u32_e64 v12, s[0:1], 0, v9, s[0:1]
	v_add_co_u32_e64 v13, s[0:1], 1, v4
	v_addc_co_u32_e64 v14, s[0:1], 0, v9, s[0:1]
	v_subb_co_u32_e32 v8, vcc, v6, v8, vcc
	v_cmp_ne_u32_e64 s[0:1], 0, v10
	v_cmp_le_u32_e32 vcc, s25, v8
	v_cndmask_b32_e64 v10, v14, v12, s[0:1]
	v_cndmask_b32_e64 v12, 0, -1, vcc
	v_cmp_le_u32_e32 vcc, s24, v7
	v_cndmask_b32_e64 v7, 0, -1, vcc
	v_cmp_eq_u32_e32 vcc, s25, v8
	v_cndmask_b32_e32 v7, v12, v7, vcc
	v_cmp_ne_u32_e32 vcc, 0, v7
	v_cndmask_b32_e64 v7, v13, v11, s[0:1]
	v_cndmask_b32_e32 v53, v9, v10, vcc
	v_cndmask_b32_e32 v52, v4, v7, vcc
.LBB0_4:                                ;   in Loop: Header=BB0_2 Depth=1
	s_andn2_saveexec_b64 s[0:1], s[26:27]
	s_cbranch_execz .LBB0_6
; %bb.5:                                ;   in Loop: Header=BB0_2 Depth=1
	v_cvt_f32_u32_e32 v4, s24
	s_sub_i32 s26, 0, s24
	v_mov_b32_e32 v53, v3
	v_rcp_iflag_f32_e32 v4, v4
	v_mul_f32_e32 v4, 0x4f7ffffe, v4
	v_cvt_u32_f32_e32 v4, v4
	v_mul_lo_u32 v7, s26, v4
	v_mul_hi_u32 v7, v4, v7
	v_add_u32_e32 v4, v4, v7
	v_mul_hi_u32 v4, v5, v4
	v_mul_lo_u32 v7, v4, s24
	v_add_u32_e32 v8, 1, v4
	v_sub_u32_e32 v7, v5, v7
	v_subrev_u32_e32 v9, s24, v7
	v_cmp_le_u32_e32 vcc, s24, v7
	v_cndmask_b32_e32 v7, v7, v9, vcc
	v_cndmask_b32_e32 v4, v4, v8, vcc
	v_add_u32_e32 v8, 1, v4
	v_cmp_le_u32_e32 vcc, s24, v7
	v_cndmask_b32_e32 v52, v4, v8, vcc
.LBB0_6:                                ;   in Loop: Header=BB0_2 Depth=1
	s_or_b64 exec, exec, s[0:1]
	v_mul_lo_u32 v4, v53, s24
	v_mul_lo_u32 v9, v52, s25
	v_mad_u64_u32 v[7:8], s[0:1], v52, s24, 0
	s_load_dwordx2 s[0:1], s[6:7], 0x0
	s_load_dwordx2 s[24:25], s[2:3], 0x0
	v_add3_u32 v4, v8, v9, v4
	v_sub_co_u32_e32 v5, vcc, v5, v7
	v_subb_co_u32_e32 v4, vcc, v6, v4, vcc
	s_waitcnt lgkmcnt(0)
	v_mul_lo_u32 v6, s0, v4
	v_mul_lo_u32 v7, s1, v5
	v_mad_u64_u32 v[1:2], s[0:1], s0, v5, v[1:2]
	v_mul_lo_u32 v4, s24, v4
	v_mul_lo_u32 v8, s25, v5
	v_mad_u64_u32 v[48:49], s[0:1], s24, v5, v[48:49]
	s_add_u32 s22, s22, 1
	s_addc_u32 s23, s23, 0
	s_add_u32 s2, s2, 8
	v_add3_u32 v49, v8, v49, v4
	s_addc_u32 s3, s3, 0
	v_mov_b32_e32 v4, s14
	s_add_u32 s6, s6, 8
	v_mov_b32_e32 v5, s15
	s_addc_u32 s7, s7, 0
	v_cmp_ge_u64_e32 vcc, s[22:23], v[4:5]
	s_add_u32 s20, s20, 8
	v_add3_u32 v2, v7, v2, v6
	s_addc_u32 s21, s21, 0
	s_cbranch_vccnz .LBB0_9
; %bb.7:                                ;   in Loop: Header=BB0_2 Depth=1
	v_mov_b32_e32 v5, v52
	v_mov_b32_e32 v6, v53
	s_branch .LBB0_2
.LBB0_8:
	v_mov_b32_e32 v49, v2
	v_mov_b32_e32 v53, v6
	;; [unrolled: 1-line block ×4, first 2 shown]
.LBB0_9:
	s_load_dwordx2 s[4:5], s[4:5], 0x28
	s_lshl_b64 s[6:7], s[14:15], 3
	s_add_u32 s2, s18, s6
	s_addc_u32 s3, s19, s7
                                        ; implicit-def: $vgpr50
	s_waitcnt lgkmcnt(0)
	v_cmp_gt_u64_e64 s[0:1], s[4:5], v[52:53]
	v_cmp_le_u64_e32 vcc, s[4:5], v[52:53]
	s_and_saveexec_b64 s[4:5], vcc
	s_xor_b64 s[4:5], exec, s[4:5]
; %bb.10:
	s_mov_b32 s14, 0x1ca4b31
	v_mul_hi_u32 v1, v0, s14
	v_mul_u32_u24_e32 v1, 0x8f, v1
	v_sub_u32_e32 v50, v0, v1
                                        ; implicit-def: $vgpr0
                                        ; implicit-def: $vgpr1_vgpr2
; %bb.11:
	s_andn2_saveexec_b64 s[4:5], s[4:5]
	s_cbranch_execz .LBB0_13
; %bb.12:
	s_add_u32 s6, s16, s6
	s_addc_u32 s7, s17, s7
	s_load_dwordx2 s[6:7], s[6:7], 0x0
	s_mov_b32 s14, 0x1ca4b31
	v_mul_hi_u32 v5, v0, s14
	s_waitcnt lgkmcnt(0)
	v_mul_lo_u32 v6, s7, v52
	v_mul_lo_u32 v7, s6, v53
	v_mad_u64_u32 v[3:4], s[6:7], s6, v52, 0
	v_mul_u32_u24_e32 v5, 0x8f, v5
	v_sub_u32_e32 v50, v0, v5
	v_add3_u32 v4, v4, v7, v6
	v_lshlrev_b64 v[3:4], 4, v[3:4]
	v_mov_b32_e32 v0, s9
	v_add_co_u32_e32 v3, vcc, s8, v3
	v_addc_co_u32_e32 v4, vcc, v0, v4, vcc
	v_lshlrev_b64 v[0:1], 4, v[1:2]
	v_lshlrev_b32_e32 v44, 4, v50
	v_add_co_u32_e32 v0, vcc, v3, v0
	v_addc_co_u32_e32 v1, vcc, v4, v1, vcc
	v_add_co_u32_e32 v32, vcc, v0, v44
	v_addc_co_u32_e32 v33, vcc, 0, v1, vcc
	s_movk_i32 s6, 0x1000
	v_add_co_u32_e32 v16, vcc, s6, v32
	v_addc_co_u32_e32 v17, vcc, 0, v33, vcc
	s_movk_i32 s6, 0x2000
	;; [unrolled: 3-line block ×3, first 2 shown]
	v_add_co_u32_e32 v34, vcc, s6, v32
	v_addc_co_u32_e32 v35, vcc, 0, v33, vcc
	v_add_co_u32_e32 v40, vcc, 0x4000, v32
	v_addc_co_u32_e32 v41, vcc, 0, v33, vcc
	v_add_co_u32_e32 v42, vcc, 0x5000, v32
	global_load_dwordx4 v[0:3], v[32:33], off
	global_load_dwordx4 v[4:7], v[32:33], off offset:2288
	global_load_dwordx4 v[8:11], v[16:17], off offset:480
	global_load_dwordx4 v[12:15], v[16:17], off offset:2768
	s_nop 0
	global_load_dwordx4 v[16:19], v[24:25], off offset:960
	global_load_dwordx4 v[20:23], v[24:25], off offset:3248
	s_nop 0
	global_load_dwordx4 v[24:27], v[34:35], off offset:1440
	global_load_dwordx4 v[28:31], v[34:35], off offset:3728
	v_addc_co_u32_e32 v43, vcc, 0, v33, vcc
	global_load_dwordx4 v[32:35], v[40:41], off offset:1920
	global_load_dwordx4 v[36:39], v[42:43], off offset:112
	v_add_u32_e32 v40, 0, v44
	s_waitcnt vmcnt(9)
	ds_write_b128 v40, v[0:3]
	s_waitcnt vmcnt(8)
	ds_write_b128 v40, v[4:7] offset:2288
	s_waitcnt vmcnt(7)
	ds_write_b128 v40, v[8:11] offset:4576
	;; [unrolled: 2-line block ×9, first 2 shown]
.LBB0_13:
	s_or_b64 exec, exec, s[4:5]
	v_lshl_add_u32 v126, v50, 4, 0
	s_waitcnt lgkmcnt(0)
	s_barrier
	ds_read_b128 v[4:7], v126
	ds_read_b128 v[0:3], v126 offset:1760
	ds_read_b128 v[8:11], v126 offset:3520
	;; [unrolled: 1-line block ×3, first 2 shown]
	s_mov_b32 s4, 0xe00740e9
	s_mov_b32 s5, 0x3fec55a7
	s_waitcnt lgkmcnt(2)
	v_add_f64 v[16:17], v[4:5], v[0:1]
	v_add_f64 v[18:19], v[6:7], v[2:3]
	s_mov_b32 s14, 0x4267c47c
	s_mov_b32 s6, 0x1ea71119
	;; [unrolled: 1-line block ×6, first 2 shown]
	s_waitcnt lgkmcnt(1)
	v_add_f64 v[16:17], v[16:17], v[8:9]
	v_add_f64 v[18:19], v[18:19], v[10:11]
	s_mov_b32 s9, 0xbfea55e2
	s_mov_b32 s17, 0x3fbedb7d
	;; [unrolled: 1-line block ×6, first 2 shown]
	s_waitcnt lgkmcnt(0)
	v_add_f64 v[32:33], v[16:17], v[12:13]
	v_add_f64 v[34:35], v[18:19], v[14:15]
	ds_read_b128 v[16:19], v126 offset:7040
	ds_read_b128 v[20:23], v126 offset:8800
	;; [unrolled: 1-line block ×9, first 2 shown]
	s_mov_b32 s20, 0x2ef20147
	s_waitcnt lgkmcnt(5)
	v_add_f64 v[60:61], v[24:25], v[28:29]
	v_add_f64 v[54:55], v[24:25], -v[28:29]
	v_add_f64 v[36:37], v[26:27], -v[30:31]
	v_add_f64 v[38:39], v[32:33], v[16:17]
	v_add_f64 v[34:35], v[34:35], v[18:19]
	;; [unrolled: 1-line block ×3, first 2 shown]
	s_waitcnt lgkmcnt(0)
	v_add_f64 v[88:89], v[0:1], v[116:117]
	v_add_f64 v[90:91], v[0:1], -v[116:117]
	v_add_f64 v[127:128], v[2:3], -v[118:119]
	v_add_f64 v[44:45], v[10:11], v[114:115]
	v_add_f64 v[129:130], v[10:11], -v[114:115]
	v_add_f64 v[40:41], v[38:39], v[20:21]
	v_add_f64 v[42:43], v[34:35], v[22:23]
	v_add_f64 v[94:95], v[8:9], -v[112:113]
	v_add_f64 v[38:39], v[18:19], v[100:101]
	v_add_f64 v[92:93], v[8:9], v[112:113]
	v_mul_f64 v[56:57], v[127:128], s[14:15]
	v_mul_f64 v[62:63], v[44:45], s[6:7]
	;; [unrolled: 1-line block ×3, first 2 shown]
	v_add_f64 v[24:25], v[40:41], v[24:25]
	v_add_f64 v[26:27], v[42:43], v[26:27]
	;; [unrolled: 1-line block ×4, first 2 shown]
	v_add_f64 v[96:97], v[12:13], -v[106:107]
	v_fma_f64 v[8:9], v[88:89], s[4:5], -v[56:57]
	v_add_f64 v[46:47], v[14:15], -v[108:109]
	v_fma_f64 v[14:15], v[94:95], s[8:9], v[62:63]
	v_add_f64 v[0:1], v[24:25], v[28:29]
	v_add_f64 v[2:3], v[26:27], v[30:31]
	v_mul_f64 v[70:71], v[42:43], s[4:5]
	v_mul_f64 v[66:67], v[40:41], s[16:17]
	v_add_f64 v[34:35], v[22:23], v[76:77]
	v_add_f64 v[84:85], v[12:13], v[106:107]
	v_fma_f64 v[12:13], v[92:93], s[6:7], -v[58:59]
	v_add_f64 v[8:9], v[4:5], v[8:9]
	v_add_f64 v[0:1], v[0:1], v[74:75]
	;; [unrolled: 1-line block ×3, first 2 shown]
	v_fma_f64 v[10:11], v[90:91], s[14:15], v[70:71]
	v_mul_f64 v[64:65], v[46:47], s[18:19]
	v_add_f64 v[104:105], v[16:17], -v[98:99]
	v_add_f64 v[131:132], v[18:19], -v[100:101]
	v_mul_f64 v[72:73], v[38:39], s[22:23]
	s_mov_b32 s26, 0xd0032e0c
	v_add_f64 v[0:1], v[0:1], v[98:99]
	v_add_f64 v[2:3], v[2:3], v[100:101]
	;; [unrolled: 1-line block ×3, first 2 shown]
	s_mov_b32 s21, 0xbfedeba7
	s_mov_b32 s27, 0xbfe7f3cc
	v_add_f64 v[80:81], v[16:17], v[98:99]
	v_add_f64 v[8:9], v[12:13], v[8:9]
	v_fma_f64 v[12:13], v[84:85], s[16:17], -v[64:65]
	v_add_f64 v[0:1], v[0:1], v[106:107]
	v_add_f64 v[2:3], v[2:3], v[108:109]
	;; [unrolled: 1-line block ×3, first 2 shown]
	v_fma_f64 v[14:15], v[96:97], s[18:19], v[66:67]
	v_mul_f64 v[68:69], v[131:132], s[20:21]
	v_add_f64 v[110:111], v[20:21], -v[74:75]
	v_add_f64 v[133:134], v[22:23], -v[76:77]
	v_mul_f64 v[76:77], v[34:35], s[26:27]
	v_add_f64 v[0:1], v[0:1], v[112:113]
	v_add_f64 v[2:3], v[2:3], v[114:115]
	v_mul_f64 v[114:115], v[127:128], s[8:9]
	v_add_f64 v[10:11], v[14:15], v[10:11]
	v_fma_f64 v[14:15], v[104:105], s[20:21], v[72:73]
	s_mov_b32 s24, 0x24c2f84
	s_mov_b32 s30, 0x93053d00
	;; [unrolled: 1-line block ×3, first 2 shown]
	v_add_f64 v[0:1], v[0:1], v[116:117]
	v_mul_f64 v[116:117], v[42:43], s[6:7]
	s_mov_b32 s31, 0xbfef11f4
	v_add_f64 v[78:79], v[20:21], v[74:75]
	v_add_f64 v[8:9], v[12:13], v[8:9]
	v_fma_f64 v[12:13], v[80:81], s[22:23], -v[68:69]
	v_mul_f64 v[74:75], v[133:134], s[24:25]
	v_add_f64 v[10:11], v[14:15], v[10:11]
	v_fma_f64 v[14:15], v[110:111], s[24:25], v[76:77]
	v_fma_f64 v[16:17], v[88:89], s[6:7], -v[114:115]
	v_mul_f64 v[98:99], v[129:130], s[20:21]
	v_fma_f64 v[18:19], v[90:91], s[8:9], v[116:117]
	v_mul_f64 v[102:103], v[44:45], s[22:23]
	v_mul_f64 v[86:87], v[32:33], s[30:31]
	s_mov_b32 s28, 0x4bc48dbf
	s_mov_b32 s29, 0xbfcea1e5
	v_add_f64 v[8:9], v[12:13], v[8:9]
	v_fma_f64 v[12:13], v[78:79], s[26:27], -v[74:75]
	v_mul_f64 v[82:83], v[36:37], s[28:29]
	v_add_f64 v[16:17], v[4:5], v[16:17]
	v_fma_f64 v[20:21], v[92:93], s[22:23], -v[98:99]
	v_add_f64 v[18:19], v[6:7], v[18:19]
	v_mul_f64 v[100:101], v[46:47], s[28:29]
	v_fma_f64 v[22:23], v[94:95], s[20:21], v[102:103]
	v_mul_f64 v[106:107], v[40:41], s[30:31]
	v_add_f64 v[10:11], v[14:15], v[10:11]
	v_fma_f64 v[14:15], v[54:55], s[28:29], v[86:87]
	s_mov_b32 s35, 0x3fe5384d
	s_mov_b32 s34, s24
	v_add_f64 v[8:9], v[12:13], v[8:9]
	v_fma_f64 v[12:13], v[60:61], s[30:31], -v[82:83]
	v_add_f64 v[16:17], v[20:21], v[16:17]
	v_fma_f64 v[20:21], v[84:85], s[30:31], -v[100:101]
	v_mul_f64 v[108:109], v[131:132], s[34:35]
	v_add_f64 v[18:19], v[22:23], v[18:19]
	v_fma_f64 v[22:23], v[96:97], s[28:29], v[106:107]
	v_add_f64 v[10:11], v[14:15], v[10:11]
	v_mul_f64 v[14:15], v[127:128], s[18:19]
	s_mov_b32 s39, 0x3fefc445
	s_mov_b32 s38, s18
	v_add_f64 v[2:3], v[2:3], v[118:119]
	v_mul_f64 v[112:113], v[38:39], s[26:27]
	v_add_f64 v[8:9], v[12:13], v[8:9]
	v_add_f64 v[12:13], v[20:21], v[16:17]
	v_fma_f64 v[16:17], v[80:81], s[26:27], -v[108:109]
	v_mul_f64 v[118:119], v[133:134], s[38:39]
	v_add_f64 v[18:19], v[22:23], v[18:19]
	v_fma_f64 v[22:23], v[88:89], s[16:17], -v[14:15]
	v_mul_f64 v[24:25], v[129:130], s[28:29]
	v_mul_f64 v[26:27], v[90:91], s[18:19]
	s_mov_b32 s37, 0x3fddbe06
	s_mov_b32 s36, s14
	;; [unrolled: 1-line block ×4, first 2 shown]
	v_fma_f64 v[20:21], v[104:105], s[34:35], v[112:113]
	v_mul_f64 v[120:121], v[34:35], s[16:17]
	v_add_f64 v[12:13], v[16:17], v[12:13]
	v_fma_f64 v[16:17], v[78:79], s[16:17], -v[118:119]
	v_mul_f64 v[122:123], v[36:37], s[36:37]
	v_add_f64 v[22:23], v[4:5], v[22:23]
	v_fma_f64 v[28:29], v[92:93], s[30:31], -v[24:25]
	v_fma_f64 v[30:31], v[42:43], s[16:17], v[26:27]
	v_mul_f64 v[135:136], v[94:95], s[28:29]
	v_mul_f64 v[137:138], v[46:47], s[40:41]
	v_add_f64 v[18:19], v[20:21], v[18:19]
	v_fma_f64 v[20:21], v[110:111], s[38:39], v[120:121]
	v_add_f64 v[12:13], v[16:17], v[12:13]
	v_fma_f64 v[16:17], v[60:61], s[4:5], -v[122:123]
	v_add_f64 v[22:23], v[28:29], v[22:23]
	v_add_f64 v[28:29], v[6:7], v[30:31]
	v_fma_f64 v[30:31], v[44:45], s[30:31], v[135:136]
	v_fma_f64 v[139:140], v[84:85], s[22:23], -v[137:138]
	v_mul_f64 v[141:142], v[96:97], s[40:41]
	v_mul_f64 v[143:144], v[131:132], s[36:37]
	v_add_f64 v[18:19], v[20:21], v[18:19]
	v_mul_f64 v[124:125], v[32:33], s[4:5]
	v_add_f64 v[12:13], v[16:17], v[12:13]
	v_fma_f64 v[14:15], v[88:89], s[16:17], v[14:15]
	v_add_f64 v[16:17], v[30:31], v[28:29]
	v_add_f64 v[20:21], v[139:140], v[22:23]
	v_fma_f64 v[22:23], v[40:41], s[22:23], v[141:142]
	v_fma_f64 v[28:29], v[80:81], s[4:5], -v[143:144]
	v_mul_f64 v[30:31], v[104:105], s[36:37]
	v_mul_f64 v[139:140], v[133:134], s[8:9]
	v_fma_f64 v[145:146], v[54:55], s[36:37], v[124:125]
	v_add_f64 v[14:15], v[4:5], v[14:15]
	v_fma_f64 v[24:25], v[92:93], s[30:31], v[24:25]
	v_fma_f64 v[26:27], v[42:43], s[16:17], -v[26:27]
	v_add_f64 v[16:17], v[22:23], v[16:17]
	v_add_f64 v[20:21], v[28:29], v[20:21]
	v_fma_f64 v[22:23], v[38:39], s[4:5], v[30:31]
	v_fma_f64 v[28:29], v[78:79], s[6:7], -v[139:140]
	v_mul_f64 v[147:148], v[110:111], s[8:9]
	v_mul_f64 v[149:150], v[36:37], s[24:25]
	v_add_f64 v[24:25], v[24:25], v[14:15]
	v_add_f64 v[26:27], v[6:7], v[26:27]
	v_fma_f64 v[135:136], v[44:45], s[30:31], -v[135:136]
	v_fma_f64 v[137:138], v[84:85], s[22:23], v[137:138]
	v_add_f64 v[16:17], v[22:23], v[16:17]
	v_add_f64 v[20:21], v[28:29], v[20:21]
	v_fma_f64 v[22:23], v[34:35], s[6:7], v[147:148]
	v_fma_f64 v[28:29], v[60:61], s[26:27], -v[149:150]
	v_add_f64 v[14:15], v[145:146], v[18:19]
	v_mul_f64 v[145:146], v[127:128], s[20:21]
	v_add_f64 v[18:19], v[135:136], v[26:27]
	v_add_f64 v[24:25], v[137:138], v[24:25]
	v_fma_f64 v[26:27], v[40:41], s[22:23], -v[141:142]
	v_fma_f64 v[135:136], v[80:81], s[4:5], v[143:144]
	v_add_f64 v[22:23], v[22:23], v[16:17]
	v_add_f64 v[16:17], v[28:29], v[20:21]
	v_mul_f64 v[137:138], v[129:130], s[34:35]
	v_fma_f64 v[28:29], v[88:89], s[22:23], -v[145:146]
	v_mul_f64 v[141:142], v[90:91], s[20:21]
	v_mul_f64 v[20:21], v[54:55], s[24:25]
	v_add_f64 v[18:19], v[26:27], v[18:19]
	v_add_f64 v[24:25], v[135:136], v[24:25]
	v_fma_f64 v[26:27], v[38:39], s[4:5], -v[30:31]
	v_fma_f64 v[30:31], v[78:79], s[6:7], v[139:140]
	v_fma_f64 v[139:140], v[92:93], s[26:27], -v[137:138]
	v_add_f64 v[28:29], v[4:5], v[28:29]
	v_fma_f64 v[143:144], v[42:43], s[22:23], v[141:142]
	v_mul_f64 v[151:152], v[94:95], s[34:35]
	v_mul_f64 v[153:154], v[46:47], s[36:37]
	v_fma_f64 v[135:136], v[32:33], s[26:27], v[20:21]
	v_add_f64 v[26:27], v[26:27], v[18:19]
	v_add_f64 v[24:25], v[30:31], v[24:25]
	v_fma_f64 v[30:31], v[34:35], s[6:7], -v[147:148]
	v_fma_f64 v[147:148], v[60:61], s[26:27], v[149:150]
	v_add_f64 v[28:29], v[139:140], v[28:29]
	v_add_f64 v[139:140], v[6:7], v[143:144]
	v_fma_f64 v[143:144], v[44:45], s[26:27], v[151:152]
	v_fma_f64 v[149:150], v[84:85], s[4:5], -v[153:154]
	v_mul_f64 v[155:156], v[96:97], s[36:37]
	v_mul_f64 v[157:158], v[131:132], s[18:19]
	v_add_f64 v[18:19], v[135:136], v[22:23]
	v_add_f64 v[22:23], v[30:31], v[26:27]
	v_fma_f64 v[26:27], v[32:33], s[26:27], -v[20:21]
	v_add_f64 v[20:21], v[147:148], v[24:25]
	v_add_f64 v[24:25], v[143:144], v[139:140]
	;; [unrolled: 1-line block ×3, first 2 shown]
	v_fma_f64 v[30:31], v[40:41], s[4:5], v[155:156]
	v_fma_f64 v[135:136], v[80:81], s[16:17], -v[157:158]
	v_fma_f64 v[143:144], v[88:89], s[22:23], v[145:146]
	s_mov_b32 s43, 0x3fcea1e5
	s_mov_b32 s42, s28
	v_mul_f64 v[139:140], v[104:105], s[18:19]
	v_mul_f64 v[145:146], v[133:134], s[42:43]
	v_fma_f64 v[141:142], v[42:43], s[22:23], -v[141:142]
	v_add_f64 v[22:23], v[26:27], v[22:23]
	v_add_f64 v[24:25], v[30:31], v[24:25]
	v_add_f64 v[26:27], v[135:136], v[28:29]
	v_add_f64 v[30:31], v[4:5], v[143:144]
	v_fma_f64 v[135:136], v[92:93], s[26:27], v[137:138]
	s_mov_b32 s41, 0x3fea55e2
	s_mov_b32 s40, s8
	v_fma_f64 v[28:29], v[38:39], s[16:17], v[139:140]
	v_fma_f64 v[137:138], v[78:79], s[30:31], -v[145:146]
	v_add_f64 v[141:142], v[6:7], v[141:142]
	v_fma_f64 v[143:144], v[44:45], s[26:27], -v[151:152]
	v_mul_f64 v[147:148], v[110:111], s[42:43]
	v_mul_f64 v[149:150], v[36:37], s[40:41]
	v_add_f64 v[30:31], v[135:136], v[30:31]
	v_fma_f64 v[135:136], v[84:85], s[4:5], v[153:154]
	v_add_f64 v[24:25], v[28:29], v[24:25]
	v_add_f64 v[26:27], v[137:138], v[26:27]
	v_mul_f64 v[151:152], v[54:55], s[40:41]
	v_add_f64 v[28:29], v[143:144], v[141:142]
	v_fma_f64 v[141:142], v[40:41], s[4:5], -v[155:156]
	v_fma_f64 v[137:138], v[34:35], s[30:31], v[147:148]
	v_fma_f64 v[143:144], v[60:61], s[6:7], -v[149:150]
	v_add_f64 v[30:31], v[135:136], v[30:31]
	v_fma_f64 v[135:136], v[80:81], s[16:17], v[157:158]
	v_mul_f64 v[153:154], v[127:128], s[24:25]
	v_fma_f64 v[139:140], v[38:39], s[16:17], -v[139:140]
	v_mul_f64 v[157:158], v[46:47], s[8:9]
	v_add_f64 v[28:29], v[141:142], v[28:29]
	v_add_f64 v[137:138], v[137:138], v[24:25]
	;; [unrolled: 1-line block ×3, first 2 shown]
	v_fma_f64 v[26:27], v[32:33], s[6:7], v[151:152]
	v_mul_f64 v[141:142], v[90:91], s[24:25]
	v_add_f64 v[30:31], v[135:136], v[30:31]
	v_fma_f64 v[135:136], v[88:89], s[26:27], -v[153:154]
	v_mul_f64 v[143:144], v[129:130], s[38:39]
	v_fma_f64 v[153:154], v[88:89], s[26:27], v[153:154]
	v_add_f64 v[28:29], v[139:140], v[28:29]
	v_fma_f64 v[139:140], v[78:79], s[30:31], v[145:146]
	v_fma_f64 v[145:146], v[34:35], s[30:31], -v[147:148]
	v_add_f64 v[26:27], v[26:27], v[137:138]
	v_fma_f64 v[137:138], v[42:43], s[26:27], v[141:142]
	v_mul_f64 v[147:148], v[94:95], s[38:39]
	v_fma_f64 v[155:156], v[92:93], s[16:17], -v[143:144]
	v_fma_f64 v[141:142], v[42:43], s[26:27], -v[141:142]
	v_add_f64 v[153:154], v[4:5], v[153:154]
	v_fma_f64 v[143:144], v[92:93], s[16:17], v[143:144]
	v_add_f64 v[135:136], v[4:5], v[135:136]
	v_add_f64 v[30:31], v[139:140], v[30:31]
	;; [unrolled: 1-line block ×3, first 2 shown]
	v_fma_f64 v[28:29], v[60:61], s[6:7], v[149:150]
	v_fma_f64 v[145:146], v[44:45], s[16:17], v[147:148]
	v_mul_f64 v[149:150], v[96:97], s[8:9]
	v_mul_f64 v[159:160], v[131:132], s[42:43]
	v_fma_f64 v[151:152], v[32:33], s[6:7], -v[151:152]
	v_add_f64 v[141:142], v[6:7], v[141:142]
	v_fma_f64 v[147:148], v[44:45], s[16:17], -v[147:148]
	v_add_f64 v[143:144], v[143:144], v[153:154]
	v_fma_f64 v[153:154], v[84:85], s[6:7], v[157:158]
	v_add_f64 v[137:138], v[6:7], v[137:138]
	v_add_f64 v[135:136], v[155:156], v[135:136]
	v_fma_f64 v[155:156], v[84:85], s[6:7], -v[157:158]
	v_mul_f64 v[161:162], v[104:105], s[42:43]
	v_add_f64 v[28:29], v[28:29], v[30:31]
	v_add_f64 v[141:142], v[147:148], v[141:142]
	v_fma_f64 v[147:148], v[40:41], s[6:7], -v[149:150]
	v_add_f64 v[30:31], v[151:152], v[139:140]
	v_add_f64 v[139:140], v[153:154], v[143:144]
	v_fma_f64 v[143:144], v[80:81], s[30:31], v[159:160]
	v_add_f64 v[137:138], v[145:146], v[137:138]
	v_fma_f64 v[145:146], v[40:41], s[6:7], v[149:150]
	v_add_f64 v[135:136], v[155:156], v[135:136]
	v_fma_f64 v[155:156], v[80:81], s[30:31], -v[159:160]
	v_mul_f64 v[163:164], v[133:134], s[36:37]
	v_mul_f64 v[165:166], v[110:111], s[36:37]
	v_add_f64 v[141:142], v[147:148], v[141:142]
	v_fma_f64 v[147:148], v[38:39], s[30:31], -v[161:162]
	v_mul_f64 v[127:128], v[127:128], s[28:29]
	v_add_f64 v[139:140], v[143:144], v[139:140]
	v_mul_f64 v[143:144], v[90:91], s[28:29]
	v_add_f64 v[137:138], v[145:146], v[137:138]
	v_fma_f64 v[145:146], v[38:39], s[30:31], v[161:162]
	v_add_f64 v[135:136], v[155:156], v[135:136]
	v_fma_f64 v[151:152], v[34:35], s[4:5], -v[165:166]
	v_add_f64 v[141:142], v[147:148], v[141:142]
	v_fma_f64 v[147:148], v[78:79], s[4:5], v[163:164]
	v_fma_f64 v[155:156], v[88:89], s[30:31], -v[127:128]
	v_mul_f64 v[129:130], v[129:130], s[36:37]
	v_fma_f64 v[159:160], v[42:43], s[30:31], v[143:144]
	v_mul_f64 v[161:162], v[94:95], s[36:37]
	v_fma_f64 v[127:128], v[88:89], s[30:31], v[127:128]
	v_fma_f64 v[42:43], v[42:43], s[30:31], -v[143:144]
	v_add_f64 v[141:142], v[151:152], v[141:142]
	v_add_f64 v[139:140], v[147:148], v[139:140]
	;; [unrolled: 1-line block ×3, first 2 shown]
	v_fma_f64 v[151:152], v[92:93], s[4:5], -v[129:130]
	v_add_f64 v[143:144], v[6:7], v[159:160]
	v_fma_f64 v[155:156], v[44:45], s[4:5], v[161:162]
	v_mul_f64 v[46:47], v[46:47], s[24:25]
	v_mul_f64 v[159:160], v[96:97], s[24:25]
	v_add_f64 v[127:128], v[4:5], v[127:128]
	v_fma_f64 v[129:130], v[92:93], s[4:5], v[129:130]
	v_fma_f64 v[44:45], v[44:45], s[4:5], -v[161:162]
	v_add_f64 v[42:43], v[6:7], v[42:43]
	v_add_f64 v[147:148], v[151:152], v[147:148]
	;; [unrolled: 1-line block ×3, first 2 shown]
	v_fma_f64 v[151:152], v[84:85], s[26:27], -v[46:47]
	v_fma_f64 v[155:156], v[40:41], s[26:27], v[159:160]
	v_mul_f64 v[131:132], v[131:132], s[40:41]
	v_mul_f64 v[161:162], v[104:105], s[40:41]
	v_add_f64 v[127:128], v[129:130], v[127:128]
	v_add_f64 v[42:43], v[44:45], v[42:43]
	v_fma_f64 v[44:45], v[84:85], s[26:27], v[46:47]
	v_fma_f64 v[40:41], v[40:41], s[26:27], -v[159:160]
	v_add_f64 v[137:138], v[145:146], v[137:138]
	v_fma_f64 v[145:146], v[78:79], s[4:5], -v[163:164]
	v_fma_f64 v[149:150], v[34:35], s[4:5], v[165:166]
	v_add_f64 v[46:47], v[151:152], v[147:148]
	v_add_f64 v[129:130], v[155:156], v[143:144]
	v_fma_f64 v[143:144], v[80:81], s[6:7], -v[131:132]
	v_fma_f64 v[147:148], v[38:39], s[6:7], v[161:162]
	v_mul_f64 v[133:134], v[133:134], s[20:21]
	v_mul_f64 v[151:152], v[110:111], s[20:21]
	v_add_f64 v[44:45], v[44:45], v[127:128]
	v_add_f64 v[40:41], v[40:41], v[42:43]
	v_fma_f64 v[42:43], v[80:81], s[6:7], v[131:132]
	v_fma_f64 v[38:39], v[38:39], s[6:7], -v[161:162]
	v_add_f64 v[135:136], v[145:146], v[135:136]
	v_add_f64 v[137:138], v[149:150], v[137:138]
	v_mul_f64 v[145:146], v[36:37], s[20:21]
	v_mul_f64 v[149:150], v[54:55], s[20:21]
	v_add_f64 v[46:47], v[143:144], v[46:47]
	v_add_f64 v[127:128], v[147:148], v[129:130]
	v_fma_f64 v[129:130], v[78:79], s[22:23], -v[133:134]
	v_fma_f64 v[131:132], v[34:35], s[22:23], v[151:152]
	v_mul_f64 v[36:37], v[36:37], s[38:39]
	v_mul_f64 v[143:144], v[54:55], s[38:39]
	v_add_f64 v[42:43], v[42:43], v[44:45]
	v_add_f64 v[38:39], v[38:39], v[40:41]
	v_fma_f64 v[40:41], v[78:79], s[22:23], v[133:134]
	v_fma_f64 v[34:35], v[34:35], s[22:23], -v[151:152]
	v_fma_f64 v[153:154], v[60:61], s[22:23], -v[145:146]
	v_fma_f64 v[157:158], v[32:33], s[22:23], v[149:150]
	v_fma_f64 v[44:45], v[60:61], s[22:23], v[145:146]
	v_fma_f64 v[133:134], v[32:33], s[22:23], -v[149:150]
	v_add_f64 v[129:130], v[129:130], v[46:47]
	v_add_f64 v[127:128], v[131:132], v[127:128]
	v_fma_f64 v[131:132], v[60:61], s[16:17], -v[36:37]
	v_fma_f64 v[145:146], v[32:33], s[16:17], v[143:144]
	v_add_f64 v[40:41], v[40:41], v[42:43]
	v_add_f64 v[42:43], v[34:35], v[38:39]
	v_fma_f64 v[147:148], v[60:61], s[16:17], v[36:37]
	v_fma_f64 v[143:144], v[32:33], s[16:17], -v[143:144]
	v_add_f64 v[32:33], v[153:154], v[135:136]
	v_add_f64 v[34:35], v[157:158], v[137:138]
	;; [unrolled: 1-line block ×8, first 2 shown]
	s_movk_i32 s33, 0x6e
	v_cmp_gt_u32_e32 vcc, s33, v50
	s_barrier
	s_and_saveexec_b64 s[40:41], vcc
	s_cbranch_execz .LBB0_15
; %bb.14:
	v_mul_f64 v[127:128], v[88:89], s[4:5]
	v_mul_f64 v[129:130], v[90:91], s[14:15]
	v_mul_f64 v[88:89], v[88:89], s[6:7]
	v_mul_f64 v[90:91], v[90:91], s[8:9]
	v_mul_f64 v[131:132], v[92:93], s[6:7]
	v_mul_f64 v[133:134], v[94:95], s[8:9]
	v_mul_f64 v[92:93], v[92:93], s[22:23]
	v_mul_f64 v[94:95], v[94:95], s[20:21]
	v_add_f64 v[56:57], v[127:128], v[56:57]
	v_add_f64 v[70:71], v[70:71], -v[129:130]
	v_add_f64 v[88:89], v[88:89], v[114:115]
	v_add_f64 v[90:91], v[116:117], -v[90:91]
	v_mul_f64 v[135:136], v[84:85], s[16:17]
	v_mul_f64 v[137:138], v[96:97], s[18:19]
	v_mul_f64 v[84:85], v[84:85], s[30:31]
	v_mul_f64 v[96:97], v[96:97], s[28:29]
	v_add_f64 v[94:95], v[102:103], -v[94:95]
	v_add_f64 v[92:93], v[92:93], v[98:99]
	v_add_f64 v[88:89], v[4:5], v[88:89]
	v_add_f64 v[90:91], v[6:7], v[90:91]
	v_add_f64 v[62:63], v[62:63], -v[133:134]
	v_add_f64 v[6:7], v[6:7], v[70:71]
	v_add_f64 v[58:59], v[131:132], v[58:59]
	v_add_f64 v[4:5], v[4:5], v[56:57]
	v_mul_f64 v[139:140], v[80:81], s[22:23]
	v_mul_f64 v[141:142], v[104:105], s[20:21]
	v_mul_f64 v[80:81], v[80:81], s[26:27]
	v_mul_f64 v[104:105], v[104:105], s[34:35]
	v_add_f64 v[56:57], v[106:107], -v[96:97]
	v_add_f64 v[70:71], v[94:95], v[90:91]
	v_add_f64 v[84:85], v[84:85], v[100:101]
	v_add_f64 v[88:89], v[92:93], v[88:89]
	v_add_f64 v[66:67], v[66:67], -v[137:138]
	v_add_f64 v[6:7], v[62:63], v[6:7]
	v_add_f64 v[62:63], v[135:136], v[64:65]
	v_add_f64 v[4:5], v[58:59], v[4:5]
	;; [unrolled: 12-line block ×4, first 2 shown]
	v_add_f64 v[54:55], v[124:125], -v[54:55]
	v_add_f64 v[56:57], v[62:63], v[56:57]
	v_add_f64 v[60:61], v[60:61], v[122:123]
	v_add_f64 v[58:59], v[58:59], v[64:65]
	v_add_f64 v[62:63], v[86:87], -v[116:117]
	v_add_f64 v[64:65], v[68:69], v[6:7]
	v_add_f64 v[66:67], v[147:148], v[82:83]
	;; [unrolled: 1-line block ×3, first 2 shown]
	s_movk_i32 s4, 0xc0
	v_mad_u32_u24 v51, v50, s4, v126
	v_add_f64 v[6:7], v[54:55], v[56:57]
	v_add_f64 v[4:5], v[60:61], v[58:59]
	;; [unrolled: 1-line block ×4, first 2 shown]
	ds_write_b128 v51, v[0:3]
	ds_write_b128 v51, v[8:11] offset:16
	ds_write_b128 v51, v[12:15] offset:32
	;; [unrolled: 1-line block ×12, first 2 shown]
.LBB0_15:
	s_or_b64 exec, exec, s[40:41]
	s_movk_i32 s4, 0x82
	v_cmp_gt_u32_e32 vcc, s4, v50
	s_waitcnt lgkmcnt(0)
	s_barrier
	s_and_saveexec_b64 s[4:5], vcc
	s_cbranch_execz .LBB0_17
; %bb.16:
	ds_read_b128 v[0:3], v126
	ds_read_b128 v[8:11], v126 offset:2080
	ds_read_b128 v[12:15], v126 offset:4160
	;; [unrolled: 1-line block ×10, first 2 shown]
.LBB0_17:
	s_or_b64 exec, exec, s[4:5]
	s_waitcnt lgkmcnt(0)
	s_barrier
	s_and_saveexec_b64 s[4:5], vcc
	s_cbranch_execz .LBB0_19
; %bb.18:
	s_movk_i32 s6, 0x4f
	v_mul_lo_u16_sdwa v4, v50, s6 dst_sel:DWORD dst_unused:UNUSED_PAD src0_sel:BYTE_0 src1_sel:DWORD
	v_lshrrev_b16_e32 v51, 10, v4
	v_mul_lo_u16_e32 v4, 13, v51
	v_sub_u16_e32 v56, v50, v4
	v_mov_b32_e32 v4, 10
	v_mul_u32_u24_sdwa v4, v56, v4 dst_sel:DWORD dst_unused:UNUSED_PAD src0_sel:BYTE_0 src1_sel:DWORD
	v_lshlrev_b32_e32 v54, 4, v4
	global_load_dwordx4 v[4:7], v54, s[12:13] offset:64
	global_load_dwordx4 v[57:60], v54, s[12:13] offset:80
	;; [unrolled: 1-line block ×8, first 2 shown]
	global_load_dwordx4 v[85:88], v54, s[12:13]
	global_load_dwordx4 v[89:92], v54, s[12:13] offset:144
	s_mov_b32 s20, 0x9bcd5057
	s_mov_b32 s21, 0xbfeeb42a
	;; [unrolled: 1-line block ×30, first 2 shown]
	s_waitcnt vmcnt(9)
	v_mul_f64 v[54:55], v[32:33], v[6:7]
	s_waitcnt vmcnt(8)
	v_mul_f64 v[93:94], v[36:37], v[59:60]
	v_mul_f64 v[6:7], v[34:35], v[6:7]
	;; [unrolled: 1-line block ×3, first 2 shown]
	s_waitcnt vmcnt(7)
	v_mul_f64 v[95:96], v[24:25], v[63:64]
	s_waitcnt vmcnt(6)
	v_mul_f64 v[97:98], v[40:41], v[67:68]
	;; [unrolled: 2-line block ×4, first 2 shown]
	v_mul_f64 v[71:72], v[18:19], v[71:72]
	v_mul_f64 v[75:76], v[46:47], v[75:76]
	s_waitcnt vmcnt(3)
	v_mul_f64 v[103:104], v[12:13], v[79:80]
	v_mul_f64 v[79:80], v[14:15], v[79:80]
	s_waitcnt vmcnt(1)
	v_mul_f64 v[107:108], v[8:9], v[87:88]
	s_waitcnt vmcnt(0)
	v_mul_f64 v[109:110], v[20:21], v[91:92]
	v_mul_f64 v[63:64], v[26:27], v[63:64]
	;; [unrolled: 1-line block ×5, first 2 shown]
	v_fma_f64 v[54:55], v[34:35], v[4:5], v[54:55]
	v_fma_f64 v[34:35], v[38:39], v[57:58], v[93:94]
	v_fma_f64 v[38:39], v[32:33], v[4:5], -v[6:7]
	v_fma_f64 v[32:33], v[36:37], v[57:58], -v[59:60]
	v_fma_f64 v[36:37], v[26:27], v[61:62], v[95:96]
	v_fma_f64 v[26:27], v[42:43], v[65:66], v[97:98]
	;; [unrolled: 1-line block ×4, first 2 shown]
	v_fma_f64 v[97:98], v[16:17], v[69:70], -v[71:72]
	v_fma_f64 v[16:17], v[44:45], v[73:74], -v[75:76]
	v_fma_f64 v[73:74], v[14:15], v[77:78], v[103:104]
	v_fma_f64 v[75:76], v[12:13], v[77:78], -v[79:80]
	v_fma_f64 v[77:78], v[10:11], v[85:86], v[107:108]
	v_fma_f64 v[4:5], v[22:23], v[89:90], v[109:110]
	v_mul_f64 v[83:84], v[30:31], v[83:84]
	v_fma_f64 v[14:15], v[30:31], v[81:82], v[105:106]
	v_fma_f64 v[22:23], v[8:9], v[85:86], -v[87:88]
	v_fma_f64 v[6:7], v[20:21], v[89:90], -v[91:92]
	v_mul_f64 v[67:68], v[42:43], v[67:68]
	v_fma_f64 v[93:94], v[24:25], v[61:62], -v[63:64]
	v_add_f64 v[85:86], v[97:98], -v[16:17]
	v_add_f64 v[91:92], v[77:78], v[4:5]
	v_fma_f64 v[12:13], v[28:29], v[81:82], -v[83:84]
	v_add_f64 v[87:88], v[73:74], v[14:15]
	v_add_f64 v[83:84], v[95:96], v[18:19]
	v_add_f64 v[99:100], v[22:23], -v[6:7]
	v_fma_f64 v[24:25], v[40:41], v[65:66], -v[67:68]
	v_add_f64 v[117:118], v[77:78], -v[4:5]
	v_add_f64 v[81:82], v[36:37], v[26:27]
	v_mul_f64 v[42:43], v[91:92], s[20:21]
	v_add_f64 v[89:90], v[75:76], -v[12:13]
	v_mul_f64 v[44:45], v[87:88], s[22:23]
	v_add_f64 v[113:114], v[73:74], -v[14:15]
	v_add_f64 v[115:116], v[22:23], v[6:7]
	v_mul_f64 v[40:41], v[83:84], s[14:15]
	v_mul_f64 v[63:64], v[117:118], s[36:37]
	v_add_f64 v[79:80], v[54:55], v[34:35]
	v_fma_f64 v[67:68], v[99:100], s[34:35], v[42:43]
	v_fma_f64 v[42:43], v[99:100], s[36:37], v[42:43]
	;; [unrolled: 1-line block ×3, first 2 shown]
	v_add_f64 v[20:21], v[93:94], -v[24:25]
	v_add_f64 v[105:106], v[36:37], -v[26:27]
	;; [unrolled: 1-line block ×3, first 2 shown]
	v_add_f64 v[111:112], v[75:76], v[12:13]
	v_mul_f64 v[30:31], v[81:82], s[8:9]
	v_add_f64 v[67:68], v[2:3], v[67:68]
	v_mul_f64 v[61:62], v[113:114], s[40:41]
	v_fma_f64 v[127:128], v[115:116], s[20:21], v[63:64]
	v_fma_f64 v[133:134], v[85:86], s[24:25], v[40:41]
	;; [unrolled: 1-line block ×3, first 2 shown]
	v_add_f64 v[42:43], v[2:3], v[42:43]
	v_add_f64 v[8:9], v[38:39], -v[32:33]
	v_add_f64 v[103:104], v[93:94], v[24:25]
	v_add_f64 v[67:68], v[123:124], v[67:68]
	;; [unrolled: 1-line block ×3, first 2 shown]
	v_mul_f64 v[28:29], v[79:80], s[6:7]
	v_mul_f64 v[57:58], v[105:106], s[38:39]
	;; [unrolled: 1-line block ×4, first 2 shown]
	v_fma_f64 v[131:132], v[20:21], s[16:17], v[30:31]
	v_fma_f64 v[135:136], v[111:112], s[22:23], v[61:62]
	v_add_f64 v[127:128], v[0:1], v[127:128]
	v_fma_f64 v[40:41], v[85:86], s[30:31], v[40:41]
	v_fma_f64 v[63:64], v[115:116], s[20:21], -v[63:64]
	v_add_f64 v[42:43], v[44:45], v[42:43]
	v_add_f64 v[44:45], v[133:134], v[67:68]
	v_mul_f64 v[69:70], v[87:88], s[6:7]
	v_mul_f64 v[121:122], v[117:118], s[30:31]
	v_fma_f64 v[129:130], v[8:9], s[18:19], v[28:29]
	v_fma_f64 v[137:138], v[103:104], s[8:9], v[57:58]
	;; [unrolled: 1-line block ×3, first 2 shown]
	v_add_f64 v[127:128], v[135:136], v[127:128]
	v_fma_f64 v[67:68], v[8:9], s[28:29], v[28:29]
	v_fma_f64 v[28:29], v[20:21], s[38:39], v[30:31]
	v_fma_f64 v[30:31], v[111:112], s[22:23], -v[61:62]
	v_add_f64 v[61:62], v[0:1], v[63:64]
	v_add_f64 v[40:41], v[40:41], v[42:43]
	;; [unrolled: 1-line block ×3, first 2 shown]
	v_fma_f64 v[44:45], v[103:104], s[8:9], -v[57:58]
	v_fma_f64 v[57:58], v[99:100], s[24:25], v[71:72]
	v_mul_f64 v[65:66], v[83:84], s[22:23]
	v_mul_f64 v[119:120], v[113:114], s[18:19]
	v_add_f64 v[63:64], v[139:140], v[127:128]
	v_fma_f64 v[59:60], v[107:108], s[14:15], -v[59:60]
	v_fma_f64 v[127:128], v[115:116], s[14:15], v[121:122]
	v_add_f64 v[61:62], v[30:31], v[61:62]
	v_add_f64 v[40:41], v[28:29], v[40:41]
	;; [unrolled: 1-line block ×3, first 2 shown]
	v_fma_f64 v[28:29], v[89:90], s[28:29], v[69:70]
	v_add_f64 v[42:43], v[2:3], v[57:58]
	v_add_f64 v[101:102], v[54:55], -v[34:35]
	v_mul_f64 v[57:58], v[109:110], s[26:27]
	v_fma_f64 v[129:130], v[111:112], s[6:7], v[119:120]
	v_add_f64 v[127:128], v[0:1], v[127:128]
	v_add_f64 v[59:60], v[59:60], v[61:62]
	v_fma_f64 v[61:62], v[99:100], s[30:31], v[71:72]
	v_mul_f64 v[71:72], v[81:82], s[20:21]
	v_fma_f64 v[131:132], v[85:86], s[40:41], v[65:66]
	v_add_f64 v[28:29], v[28:29], v[42:43]
	v_add_f64 v[10:11], v[38:39], v[32:33]
	v_mul_f64 v[46:47], v[101:102], s[28:29]
	v_mul_f64 v[133:134], v[105:106], s[36:37]
	v_fma_f64 v[42:43], v[107:108], s[22:23], v[57:58]
	v_add_f64 v[127:128], v[129:130], v[127:128]
	v_fma_f64 v[69:70], v[89:90], s[18:19], v[69:70]
	v_add_f64 v[61:62], v[2:3], v[61:62]
	v_mul_f64 v[129:130], v[79:80], s[8:9]
	v_fma_f64 v[135:136], v[20:21], s[34:35], v[71:72]
	v_add_f64 v[28:29], v[131:132], v[28:29]
	v_fma_f64 v[123:124], v[10:11], s[6:7], v[46:47]
	v_fma_f64 v[46:47], v[10:11], s[6:7], -v[46:47]
	v_add_f64 v[63:64], v[137:138], v[63:64]
	v_fma_f64 v[137:138], v[103:104], s[20:21], v[133:134]
	v_add_f64 v[42:43], v[42:43], v[127:128]
	v_fma_f64 v[65:66], v[85:86], s[26:27], v[65:66]
	v_add_f64 v[61:62], v[69:70], v[61:62]
	v_add_f64 v[44:45], v[44:45], v[59:60]
	v_fma_f64 v[59:60], v[8:9], s[16:17], v[129:130]
	v_add_f64 v[69:70], v[135:136], v[28:29]
	v_mul_f64 v[131:132], v[101:102], s[38:39]
	v_add_f64 v[28:29], v[123:124], v[63:64]
	v_add_f64 v[123:124], v[137:138], v[42:43]
	v_fma_f64 v[71:72], v[20:21], s[36:37], v[71:72]
	v_add_f64 v[61:62], v[65:66], v[61:62]
	v_add_f64 v[42:43], v[67:68], v[40:41]
	v_add_f64 v[40:41], v[46:47], v[44:45]
	v_add_f64 v[46:47], v[59:60], v[69:70]
	v_mul_f64 v[59:60], v[91:92], s[6:7]
	v_fma_f64 v[63:64], v[10:11], s[8:9], v[131:132]
	v_fma_f64 v[65:66], v[115:116], s[14:15], -v[121:122]
	v_fma_f64 v[67:68], v[111:112], s[6:7], -v[119:120]
	v_add_f64 v[61:62], v[71:72], v[61:62]
	v_mul_f64 v[69:70], v[117:118], s[28:29]
	v_mul_f64 v[71:72], v[87:88], s[20:21]
	v_fma_f64 v[121:122], v[10:11], s[8:9], -v[131:132]
	v_fma_f64 v[119:120], v[99:100], s[18:19], v[59:60]
	v_add_f64 v[44:45], v[63:64], v[123:124]
	v_fma_f64 v[63:64], v[8:9], s[38:39], v[129:130]
	v_add_f64 v[65:66], v[0:1], v[65:66]
	v_mul_f64 v[123:124], v[83:84], s[8:9]
	v_mul_f64 v[127:128], v[113:114], s[34:35]
	v_fma_f64 v[129:130], v[115:116], s[6:7], v[69:70]
	v_fma_f64 v[131:132], v[89:90], s[36:37], v[71:72]
	v_add_f64 v[119:120], v[2:3], v[119:120]
	v_fma_f64 v[57:58], v[107:108], s[22:23], -v[57:58]
	v_mul_f64 v[135:136], v[109:110], s[38:39]
	v_add_f64 v[65:66], v[67:68], v[65:66]
	v_fma_f64 v[67:68], v[103:104], s[20:21], -v[133:134]
	v_mul_f64 v[133:134], v[81:82], s[22:23]
	v_fma_f64 v[137:138], v[111:112], s[20:21], v[127:128]
	v_add_f64 v[129:130], v[0:1], v[129:130]
	v_fma_f64 v[139:140], v[85:86], s[16:17], v[123:124]
	v_add_f64 v[119:120], v[131:132], v[119:120]
	v_fma_f64 v[69:70], v[115:116], s[6:7], -v[69:70]
	v_add_f64 v[57:58], v[57:58], v[65:66]
	v_fma_f64 v[59:60], v[99:100], s[28:29], v[59:60]
	v_mul_f64 v[131:132], v[105:106], s[26:27]
	v_fma_f64 v[141:142], v[107:108], s[8:9], v[135:136]
	v_add_f64 v[129:130], v[137:138], v[129:130]
	v_fma_f64 v[137:138], v[20:21], s[40:41], v[133:134]
	v_add_f64 v[119:120], v[139:140], v[119:120]
	v_fma_f64 v[127:128], v[111:112], s[20:21], -v[127:128]
	v_add_f64 v[69:70], v[0:1], v[69:70]
	v_add_f64 v[77:78], v[2:3], v[77:78]
	;; [unrolled: 1-line block ×4, first 2 shown]
	v_fma_f64 v[67:68], v[89:90], s[34:35], v[71:72]
	v_add_f64 v[59:60], v[2:3], v[59:60]
	v_fma_f64 v[139:140], v[103:104], s[22:23], v[131:132]
	v_add_f64 v[129:130], v[141:142], v[129:130]
	v_add_f64 v[119:120], v[137:138], v[119:120]
	v_mul_f64 v[137:138], v[91:92], s[8:9]
	v_fma_f64 v[135:136], v[107:108], s[8:9], -v[135:136]
	v_add_f64 v[69:70], v[127:128], v[69:70]
	v_add_f64 v[73:74], v[77:78], v[73:74]
	;; [unrolled: 1-line block ×3, first 2 shown]
	v_mul_f64 v[65:66], v[79:80], s[14:15]
	v_fma_f64 v[123:124], v[85:86], s[38:39], v[123:124]
	v_add_f64 v[59:60], v[67:68], v[59:60]
	v_mul_f64 v[143:144], v[117:118], s[16:17]
	v_add_f64 v[129:130], v[139:140], v[129:130]
	v_mul_f64 v[139:140], v[87:88], s[14:15]
	v_fma_f64 v[145:146], v[99:100], s[38:39], v[137:138]
	v_fma_f64 v[131:132], v[103:104], s[22:23], -v[131:132]
	v_add_f64 v[69:70], v[135:136], v[69:70]
	v_mul_f64 v[135:136], v[79:80], s[22:23]
	v_mul_f64 v[91:92], v[91:92], s[22:23]
	v_add_f64 v[73:74], v[73:74], v[95:96]
	v_add_f64 v[22:23], v[22:23], v[97:98]
	v_mul_f64 v[71:72], v[101:102], s[30:31]
	v_fma_f64 v[141:142], v[8:9], s[24:25], v[65:66]
	v_fma_f64 v[133:134], v[20:21], s[26:27], v[133:134]
	v_add_f64 v[59:60], v[123:124], v[59:60]
	v_mul_f64 v[123:124], v[113:114], s[30:31]
	v_fma_f64 v[147:148], v[115:116], s[8:9], v[143:144]
	v_mul_f64 v[149:150], v[83:84], s[20:21]
	v_fma_f64 v[151:152], v[89:90], s[24:25], v[139:140]
	v_add_f64 v[145:146], v[2:3], v[145:146]
	v_add_f64 v[69:70], v[131:132], v[69:70]
	v_fma_f64 v[131:132], v[8:9], s[26:27], v[135:136]
	v_add_f64 v[57:58], v[121:122], v[57:58]
	v_fma_f64 v[121:122], v[8:9], s[40:41], v[135:136]
	v_mul_f64 v[87:88], v[87:88], s[8:9]
	v_fma_f64 v[135:136], v[99:100], s[40:41], v[91:92]
	v_add_f64 v[36:37], v[73:74], v[36:37]
	v_add_f64 v[22:23], v[22:23], v[93:94]
	v_fma_f64 v[67:68], v[10:11], s[14:15], v[71:72]
	v_fma_f64 v[155:156], v[111:112], s[14:15], v[123:124]
	v_add_f64 v[147:148], v[0:1], v[147:148]
	v_mul_f64 v[127:128], v[81:82], s[6:7]
	v_fma_f64 v[157:158], v[85:86], s[36:37], v[149:150]
	v_add_f64 v[145:146], v[151:152], v[145:146]
	v_add_f64 v[133:134], v[133:134], v[59:60]
	;; [unrolled: 1-line block ×4, first 2 shown]
	v_fma_f64 v[119:120], v[99:100], s[16:17], v[137:138]
	v_mul_f64 v[83:84], v[83:84], s[6:7]
	v_fma_f64 v[137:138], v[89:90], s[38:39], v[87:88]
	v_add_f64 v[135:136], v[2:3], v[135:136]
	v_mul_f64 v[73:74], v[117:118], s[26:27]
	v_add_f64 v[36:37], v[36:37], v[54:55]
	v_add_f64 v[22:23], v[22:23], v[38:39]
	;; [unrolled: 1-line block ×3, first 2 shown]
	v_fma_f64 v[155:156], v[20:21], s[28:29], v[127:128]
	v_add_f64 v[145:146], v[157:158], v[145:146]
	v_fma_f64 v[65:66], v[8:9], s[30:31], v[65:66]
	v_add_f64 v[61:62], v[67:68], v[129:130]
	v_fma_f64 v[129:130], v[115:116], s[8:9], -v[143:144]
	v_mul_f64 v[81:82], v[81:82], s[14:15]
	v_fma_f64 v[75:76], v[85:86], s[18:19], v[83:84]
	v_add_f64 v[77:78], v[137:138], v[135:136]
	v_fma_f64 v[91:92], v[99:100], s[26:27], v[91:92]
	v_mul_f64 v[99:100], v[113:114], s[16:17]
	v_fma_f64 v[38:39], v[115:116], s[22:23], -v[73:74]
	v_fma_f64 v[73:74], v[115:116], s[22:23], v[73:74]
	v_add_f64 v[34:35], v[36:37], v[34:35]
	v_add_f64 v[22:23], v[22:23], v[32:33]
	v_mul_f64 v[153:154], v[109:110], s[34:35]
	v_fma_f64 v[71:72], v[10:11], s[14:15], -v[71:72]
	v_add_f64 v[145:146], v[155:156], v[145:146]
	v_add_f64 v[67:68], v[65:66], v[133:134]
	v_fma_f64 v[133:134], v[89:90], s[30:31], v[139:140]
	v_add_f64 v[119:120], v[2:3], v[119:120]
	v_fma_f64 v[123:124], v[111:112], s[14:15], -v[123:124]
	v_add_f64 v[129:130], v[0:1], v[129:130]
	v_fma_f64 v[95:96], v[20:21], s[24:25], v[81:82]
	v_add_f64 v[75:76], v[75:76], v[77:78]
	v_mul_f64 v[54:55], v[109:110], s[28:29]
	v_fma_f64 v[87:88], v[89:90], s[16:17], v[87:88]
	v_add_f64 v[2:3], v[2:3], v[91:92]
	v_fma_f64 v[89:90], v[111:112], s[8:9], -v[99:100]
	v_add_f64 v[32:33], v[0:1], v[38:39]
	v_fma_f64 v[36:37], v[111:112], s[8:9], v[99:100]
	v_add_f64 v[0:1], v[0:1], v[73:74]
	v_add_f64 v[26:27], v[34:35], v[26:27]
	;; [unrolled: 1-line block ×3, first 2 shown]
	v_mul_f64 v[151:152], v[105:106], s[18:19]
	v_add_f64 v[65:66], v[71:72], v[69:70]
	v_add_f64 v[71:72], v[131:132], v[145:146]
	v_fma_f64 v[131:132], v[85:86], s[34:35], v[149:150]
	v_add_f64 v[119:120], v[133:134], v[119:120]
	v_fma_f64 v[133:134], v[107:108], s[20:21], -v[153:154]
	v_add_f64 v[123:124], v[123:124], v[129:130]
	v_add_f64 v[75:76], v[95:96], v[75:76]
	v_mul_f64 v[95:96], v[105:106], s[30:31]
	v_fma_f64 v[38:39], v[85:86], s[28:29], v[83:84]
	v_add_f64 v[2:3], v[87:88], v[2:3]
	v_fma_f64 v[73:74], v[107:108], s[6:7], -v[54:55]
	v_add_f64 v[24:25], v[89:90], v[32:33]
	v_fma_f64 v[159:160], v[107:108], s[20:21], v[153:154]
	v_fma_f64 v[32:33], v[107:108], s[6:7], v[54:55]
	v_add_f64 v[0:1], v[36:37], v[0:1]
	v_add_f64 v[18:19], v[26:27], v[18:19]
	;; [unrolled: 1-line block ×3, first 2 shown]
	v_fma_f64 v[127:128], v[20:21], s[18:19], v[127:128]
	v_add_f64 v[119:120], v[131:132], v[119:120]
	v_fma_f64 v[129:130], v[103:104], s[6:7], -v[151:152]
	v_add_f64 v[123:124], v[133:134], v[123:124]
	v_mul_f64 v[79:80], v[79:80], s[20:21]
	v_mul_f64 v[93:94], v[101:102], s[36:37]
	v_fma_f64 v[20:21], v[20:21], s[30:31], v[81:82]
	v_add_f64 v[2:3], v[38:39], v[2:3]
	v_fma_f64 v[34:35], v[103:104], s[14:15], -v[95:96]
	v_add_f64 v[22:23], v[73:74], v[24:25]
	v_mul_f64 v[157:158], v[101:102], s[40:41]
	v_fma_f64 v[161:162], v[103:104], s[6:7], v[151:152]
	v_add_f64 v[147:148], v[159:160], v[147:148]
	v_fma_f64 v[24:25], v[103:104], s[14:15], v[95:96]
	v_add_f64 v[0:1], v[32:33], v[0:1]
	v_add_f64 v[14:15], v[18:19], v[14:15]
	;; [unrolled: 1-line block ×5, first 2 shown]
	v_fma_f64 v[123:124], v[8:9], s[34:35], v[79:80]
	v_fma_f64 v[8:9], v[8:9], s[36:37], v[79:80]
	v_add_f64 v[20:21], v[20:21], v[2:3]
	v_fma_f64 v[26:27], v[10:11], s[20:21], -v[93:94]
	v_add_f64 v[18:19], v[34:35], v[22:23]
	v_fma_f64 v[97:98], v[10:11], s[22:23], -v[157:158]
	v_fma_f64 v[155:156], v[10:11], s[22:23], v[157:158]
	v_add_f64 v[147:148], v[161:162], v[147:148]
	v_fma_f64 v[22:23], v[10:11], s[20:21], v[93:94]
	v_add_f64 v[24:25], v[24:25], v[0:1]
	v_add_f64 v[12:13], v[14:15], v[4:5]
	;; [unrolled: 1-line block ×7, first 2 shown]
	v_mov_b32_e32 v5, 4
	v_mul_u32_u24_e32 v4, 0x8f0, v51
	v_lshlrev_b32_sdwa v5, v5, v56 dst_sel:DWORD dst_unused:UNUSED_PAD src0_sel:DWORD src1_sel:BYTE_0
	v_add3_u32 v4, 0, v4, v5
	v_add_f64 v[69:70], v[155:156], v[147:148]
	v_add_f64 v[16:17], v[123:124], v[75:76]
	;; [unrolled: 1-line block ×3, first 2 shown]
	ds_write_b128 v4, v[10:13]
	ds_write_b128 v4, v[6:9] offset:208
	ds_write_b128 v4, v[0:3] offset:416
	;; [unrolled: 1-line block ×10, first 2 shown]
.LBB0_19:
	s_or_b64 exec, exec, s[4:5]
	v_mul_u32_u24_e32 v0, 9, v50
	v_lshlrev_b32_e32 v36, 4, v0
	s_load_dwordx2 s[2:3], s[2:3], 0x0
	s_waitcnt lgkmcnt(0)
	s_barrier
	global_load_dwordx4 v[0:3], v36, s[12:13] offset:2080
	global_load_dwordx4 v[4:7], v36, s[12:13] offset:2096
	;; [unrolled: 1-line block ×9, first 2 shown]
	ds_read_b128 v[36:39], v126
	ds_read_b128 v[40:43], v126 offset:2288
	ds_read_b128 v[44:47], v126 offset:4576
	;; [unrolled: 1-line block ×9, first 2 shown]
	s_mov_b32 s4, 0x134454ff
	s_mov_b32 s5, 0x3fee6f0e
	;; [unrolled: 1-line block ×12, first 2 shown]
	s_waitcnt vmcnt(0) lgkmcnt(0)
	s_barrier
	v_cmp_ne_u32_e32 vcc, 0, v50
	v_mul_f64 v[82:83], v[42:43], v[2:3]
	v_mul_f64 v[2:3], v[40:41], v[2:3]
	;; [unrolled: 1-line block ×18, first 2 shown]
	v_fma_f64 v[40:41], v[40:41], v[0:1], -v[82:83]
	v_fma_f64 v[0:1], v[42:43], v[0:1], v[2:3]
	v_fma_f64 v[2:3], v[44:45], v[4:5], -v[84:85]
	v_fma_f64 v[4:5], v[46:47], v[4:5], v[6:7]
	v_fma_f64 v[6:7], v[54:55], v[8:9], -v[86:87]
	v_fma_f64 v[8:9], v[56:57], v[8:9], v[10:11]
	v_fma_f64 v[10:11], v[58:59], v[12:13], -v[88:89]
	v_fma_f64 v[12:13], v[60:61], v[12:13], v[14:15]
	v_fma_f64 v[14:15], v[62:63], v[16:17], -v[90:91]
	v_fma_f64 v[16:17], v[64:65], v[16:17], v[18:19]
	v_fma_f64 v[18:19], v[66:67], v[20:21], -v[92:93]
	v_fma_f64 v[20:21], v[68:69], v[20:21], v[22:23]
	v_fma_f64 v[22:23], v[76:77], v[28:29], v[30:31]
	v_fma_f64 v[30:31], v[70:71], v[24:25], -v[94:95]
	v_fma_f64 v[24:25], v[72:73], v[24:25], v[26:27]
	v_fma_f64 v[26:27], v[74:75], v[28:29], -v[96:97]
	v_fma_f64 v[28:29], v[78:79], v[32:33], -v[98:99]
	v_fma_f64 v[32:33], v[80:81], v[32:33], v[34:35]
	v_add_f64 v[34:35], v[36:37], v[2:3]
	v_add_f64 v[42:43], v[10:11], v[18:19]
	v_add_f64 v[54:55], v[2:3], -v[10:11]
	v_add_f64 v[64:65], v[38:39], v[4:5]
	v_add_f64 v[66:67], v[12:13], v[20:21]
	v_add_f64 v[56:57], v[26:27], -v[18:19]
	v_add_f64 v[58:59], v[2:3], v[26:27]
	v_add_f64 v[44:45], v[4:5], -v[22:23]
	v_add_f64 v[46:47], v[12:13], -v[20:21]
	;; [unrolled: 1-line block ×7, first 2 shown]
	v_add_f64 v[74:75], v[4:5], v[22:23]
	v_add_f64 v[4:5], v[12:13], -v[4:5]
	v_add_f64 v[80:81], v[14:15], v[30:31]
	v_add_f64 v[10:11], v[34:35], v[10:11]
	v_fma_f64 v[34:35], v[42:43], -0.5, v[36:37]
	v_add_f64 v[42:43], v[54:55], v[56:57]
	v_fma_f64 v[36:37], v[58:59], -0.5, v[36:37]
	;; [unrolled: 2-line block ×3, first 2 shown]
	v_add_f64 v[72:73], v[22:23], -v[20:21]
	v_add_f64 v[76:77], v[20:21], -v[22:23]
	v_add_f64 v[78:79], v[40:41], v[6:7]
	v_add_f64 v[82:83], v[8:9], -v[32:33]
	v_add_f64 v[54:55], v[60:61], v[62:63]
	v_fma_f64 v[38:39], v[74:75], -0.5, v[38:39]
	v_fma_f64 v[62:63], v[80:81], -0.5, v[40:41]
	v_add_f64 v[10:11], v[10:11], v[18:19]
	v_fma_f64 v[18:19], v[44:45], s[4:5], v[34:35]
	v_fma_f64 v[34:35], v[44:45], s[14:15], v[34:35]
	;; [unrolled: 1-line block ×4, first 2 shown]
	v_add_f64 v[12:13], v[12:13], v[20:21]
	v_fma_f64 v[20:21], v[2:3], s[14:15], v[56:57]
	v_fma_f64 v[56:57], v[2:3], s[4:5], v[56:57]
	v_add_f64 v[84:85], v[16:17], -v[24:25]
	v_add_f64 v[86:87], v[6:7], -v[14:15]
	;; [unrolled: 1-line block ×3, first 2 shown]
	v_add_f64 v[90:91], v[6:7], v[28:29]
	v_add_f64 v[58:59], v[70:71], v[72:73]
	;; [unrolled: 1-line block ×3, first 2 shown]
	v_fma_f64 v[66:67], v[68:69], s[4:5], v[38:39]
	v_fma_f64 v[38:39], v[68:69], s[14:15], v[38:39]
	v_fma_f64 v[70:71], v[82:83], s[4:5], v[62:63]
	v_fma_f64 v[18:19], v[46:47], s[6:7], v[18:19]
	v_fma_f64 v[34:35], v[46:47], s[16:17], v[34:35]
	v_fma_f64 v[46:47], v[44:45], s[6:7], v[64:65]
	v_fma_f64 v[36:37], v[44:45], s[16:17], v[36:37]
	v_fma_f64 v[20:21], v[68:69], s[16:17], v[20:21]
	v_add_f64 v[26:27], v[10:11], v[26:27]
	v_fma_f64 v[10:11], v[68:69], s[6:7], v[56:57]
	v_add_f64 v[22:23], v[12:13], v[22:23]
	v_fma_f64 v[44:45], v[42:43], s[8:9], v[18:19]
	v_fma_f64 v[34:35], v[42:43], s[8:9], v[34:35]
	;; [unrolled: 1-line block ×6, first 2 shown]
	v_add_f64 v[4:5], v[4:5], v[76:77]
	v_fma_f64 v[54:55], v[58:59], s[8:9], v[10:11]
	v_fma_f64 v[10:11], v[90:91], -0.5, v[40:41]
	v_fma_f64 v[2:3], v[2:3], s[6:7], v[38:39]
	v_add_f64 v[18:19], v[60:61], v[30:31]
	v_fma_f64 v[20:21], v[84:85], s[6:7], v[70:71]
	v_add_f64 v[38:39], v[86:87], v[88:89]
	v_add_f64 v[40:41], v[16:17], v[24:25]
	v_fma_f64 v[56:57], v[4:5], s[8:9], v[12:13]
	v_fma_f64 v[12:13], v[82:83], s[14:15], v[62:63]
	;; [unrolled: 1-line block ×4, first 2 shown]
	v_add_f64 v[62:63], v[18:19], v[28:29]
	v_add_f64 v[2:3], v[8:9], v[32:33]
	v_fma_f64 v[4:5], v[38:39], s[8:9], v[20:21]
	v_fma_f64 v[18:19], v[40:41], -0.5, v[0:1]
	v_add_f64 v[20:21], v[6:7], -v[28:29]
	v_add_f64 v[64:65], v[14:15], -v[30:31]
	v_fma_f64 v[40:41], v[82:83], s[6:7], v[58:59]
	v_add_f64 v[58:59], v[0:1], v[8:9]
	v_fma_f64 v[10:11], v[84:85], s[4:5], v[10:11]
	v_fma_f64 v[0:1], v[2:3], -0.5, v[0:1]
	v_add_f64 v[2:3], v[14:15], -v[6:7]
	v_add_f64 v[6:7], v[30:31], -v[28:29]
	v_fma_f64 v[14:15], v[20:21], s[14:15], v[18:19]
	v_add_f64 v[28:29], v[8:9], -v[16:17]
	v_add_f64 v[30:31], v[32:33], -v[24:25]
	v_add_f64 v[58:59], v[58:59], v[16:17]
	v_add_f64 v[8:9], v[16:17], -v[8:9]
	v_add_f64 v[16:17], v[24:25], -v[32:33]
	v_fma_f64 v[66:67], v[64:65], s[4:5], v[0:1]
	v_fma_f64 v[0:1], v[64:65], s[14:15], v[0:1]
	;; [unrolled: 1-line block ×4, first 2 shown]
	v_add_f64 v[28:29], v[28:29], v[30:31]
	v_add_f64 v[2:3], v[2:3], v[6:7]
	v_fma_f64 v[6:7], v[82:83], s[16:17], v[10:11]
	v_add_f64 v[8:9], v[8:9], v[16:17]
	v_add_f64 v[16:17], v[58:59], v[24:25]
	v_fma_f64 v[10:11], v[20:21], s[16:17], v[66:67]
	v_fma_f64 v[0:1], v[20:21], s[6:7], v[0:1]
	;; [unrolled: 1-line block ×7, first 2 shown]
	v_add_f64 v[30:31], v[16:17], v[32:33]
	v_fma_f64 v[6:7], v[8:9], s[8:9], v[10:11]
	v_fma_f64 v[8:9], v[8:9], s[8:9], v[0:1]
	;; [unrolled: 1-line block ×3, first 2 shown]
	v_mul_f64 v[16:17], v[14:15], s[6:7]
	v_fma_f64 v[10:11], v[28:29], s[8:9], v[18:19]
	v_mul_f64 v[38:39], v[20:21], s[14:15]
	v_mul_f64 v[24:25], v[2:3], s[8:9]
	v_add_f64 v[0:1], v[26:27], v[62:63]
	v_mul_f64 v[18:19], v[6:7], s[4:5]
	v_mul_f64 v[40:41], v[8:9], s[8:9]
	;; [unrolled: 1-line block ×3, first 2 shown]
	v_fma_f64 v[32:33], v[4:5], s[18:19], v[16:17]
	v_mul_f64 v[16:17], v[4:5], s[16:17]
	v_mul_f64 v[58:59], v[10:11], s[18:19]
	v_fma_f64 v[38:39], v[6:7], s[8:9], v[38:39]
	v_fma_f64 v[66:67], v[8:9], s[4:5], -v[24:25]
	v_fma_f64 v[64:65], v[20:21], s[8:9], v[18:19]
	v_fma_f64 v[40:41], v[2:3], s[14:15], -v[40:41]
	v_fma_f64 v[68:69], v[10:11], s[6:7], -v[28:29]
	v_add_f64 v[2:3], v[22:23], v[30:31]
	v_fma_f64 v[70:71], v[14:15], s[18:19], v[16:17]
	v_fma_f64 v[58:59], v[12:13], s[16:17], -v[58:59]
	v_add_f64 v[4:5], v[44:45], v[32:33]
	v_add_f64 v[10:11], v[56:57], v[38:39]
	;; [unrolled: 1-line block ×8, first 2 shown]
	v_add_f64 v[20:21], v[26:27], -v[62:63]
	v_add_f64 v[22:23], v[22:23], -v[30:31]
	;; [unrolled: 1-line block ×10, first 2 shown]
	ds_write_b128 v126, v[0:3]
	ds_write_b128 v126, v[4:7] offset:2288
	ds_write_b128 v126, v[8:11] offset:4576
	;; [unrolled: 1-line block ×9, first 2 shown]
	s_waitcnt lgkmcnt(0)
	s_barrier
	ds_read_b128 v[4:7], v126
	s_add_u32 s6, s12, 0x5890
	v_lshlrev_b32_e32 v0, 4, v50
	s_addc_u32 s7, s13, 0
	v_sub_u32_e32 v14, 0, v0
                                        ; implicit-def: $vgpr0_vgpr1
                                        ; implicit-def: $vgpr8_vgpr9
                                        ; implicit-def: $vgpr10_vgpr11
                                        ; implicit-def: $vgpr12_vgpr13
	s_and_saveexec_b64 s[4:5], vcc
	s_xor_b64 s[4:5], exec, s[4:5]
	s_cbranch_execz .LBB0_21
; %bb.20:
	v_mov_b32_e32 v51, 0
	v_lshlrev_b64 v[0:1], 4, v[50:51]
	v_mov_b32_e32 v2, s7
	v_add_co_u32_e32 v0, vcc, s6, v0
	v_addc_co_u32_e32 v1, vcc, v2, v1, vcc
	global_load_dwordx4 v[15:18], v[0:1], off
	ds_read_b128 v[0:3], v14 offset:22880
	s_waitcnt lgkmcnt(0)
	v_add_f64 v[8:9], v[4:5], -v[0:1]
	v_add_f64 v[10:11], v[6:7], v[2:3]
	v_add_f64 v[2:3], v[6:7], -v[2:3]
	v_add_f64 v[0:1], v[4:5], v[0:1]
	v_mul_f64 v[6:7], v[8:9], 0.5
	v_mul_f64 v[4:5], v[10:11], 0.5
	;; [unrolled: 1-line block ×3, first 2 shown]
	s_waitcnt vmcnt(0)
	v_mul_f64 v[8:9], v[6:7], v[17:18]
	v_fma_f64 v[10:11], v[4:5], v[17:18], v[2:3]
	v_fma_f64 v[2:3], v[4:5], v[17:18], -v[2:3]
	v_fma_f64 v[12:13], v[0:1], 0.5, v[8:9]
	v_fma_f64 v[0:1], v[0:1], 0.5, -v[8:9]
	v_fma_f64 v[10:11], -v[15:16], v[6:7], v[10:11]
	v_fma_f64 v[2:3], -v[15:16], v[6:7], v[2:3]
	v_fma_f64 v[8:9], v[4:5], v[15:16], v[12:13]
	v_mov_b32_e32 v12, v50
	v_fma_f64 v[0:1], -v[4:5], v[15:16], v[0:1]
	v_mov_b32_e32 v13, v51
                                        ; implicit-def: $vgpr4_vgpr5
.LBB0_21:
	s_andn2_saveexec_b64 s[4:5], s[4:5]
	s_cbranch_execz .LBB0_23
; %bb.22:
	s_waitcnt lgkmcnt(0)
	v_add_f64 v[8:9], v[4:5], v[6:7]
	v_add_f64 v[0:1], v[4:5], -v[6:7]
	v_mov_b32_e32 v4, 0
	ds_read_b64 v[2:3], v4 offset:11448
	v_mov_b32_e32 v10, 0
	v_mov_b32_e32 v12, 0
	;; [unrolled: 1-line block ×4, first 2 shown]
	s_waitcnt lgkmcnt(0)
	v_xor_b32_e32 v3, 0x80000000, v3
	ds_write_b64 v4, v[2:3] offset:11448
	v_mov_b32_e32 v2, v10
	v_mov_b32_e32 v3, v11
.LBB0_23:
	s_or_b64 exec, exec, s[4:5]
	s_waitcnt lgkmcnt(0)
	v_lshlrev_b64 v[4:5], 4, v[12:13]
	v_mov_b32_e32 v6, s7
	v_add_co_u32_e32 v12, vcc, s6, v4
	v_addc_co_u32_e32 v13, vcc, v6, v5, vcc
	global_load_dwordx4 v[4:7], v[12:13], off offset:2288
	s_movk_i32 s4, 0x1000
	v_add_co_u32_e32 v19, vcc, s4, v12
	v_addc_co_u32_e32 v20, vcc, 0, v13, vcc
	global_load_dwordx4 v[15:18], v[19:20], off offset:480
	ds_write2_b64 v126, v[8:9], v[10:11] offset1:1
	ds_write_b128 v14, v[0:3] offset:22880
	ds_read_b128 v[0:3], v126 offset:2288
	ds_read_b128 v[8:11], v14 offset:20592
	s_movk_i32 s4, 0x2000
	s_waitcnt lgkmcnt(0)
	v_add_f64 v[21:22], v[0:1], -v[8:9]
	v_add_f64 v[23:24], v[2:3], v[10:11]
	v_add_f64 v[2:3], v[2:3], -v[10:11]
	v_add_f64 v[0:1], v[0:1], v[8:9]
	v_mul_f64 v[10:11], v[21:22], 0.5
	v_mul_f64 v[21:22], v[23:24], 0.5
	v_mul_f64 v[2:3], v[2:3], 0.5
	s_waitcnt vmcnt(1)
	v_mul_f64 v[8:9], v[10:11], v[6:7]
	v_fma_f64 v[23:24], v[21:22], v[6:7], v[2:3]
	v_fma_f64 v[6:7], v[21:22], v[6:7], -v[2:3]
	v_fma_f64 v[25:26], v[0:1], 0.5, v[8:9]
	v_fma_f64 v[8:9], v[0:1], 0.5, -v[8:9]
	global_load_dwordx4 v[0:3], v[19:20], off offset:2768
	v_fma_f64 v[19:20], -v[4:5], v[10:11], v[23:24]
	v_fma_f64 v[6:7], -v[4:5], v[10:11], v[6:7]
	v_fma_f64 v[10:11], v[21:22], v[4:5], v[25:26]
	v_fma_f64 v[4:5], -v[21:22], v[4:5], v[8:9]
	v_add_u32_e32 v8, 0x800, v126
	ds_write2_b64 v8, v[10:11], v[19:20] offset0:30 offset1:31
	ds_write_b128 v14, v[4:7] offset:20592
	ds_read_b128 v[4:7], v126 offset:4576
	ds_read_b128 v[8:11], v14 offset:18304
	s_waitcnt lgkmcnt(0)
	v_add_f64 v[19:20], v[4:5], -v[8:9]
	v_add_f64 v[21:22], v[6:7], v[10:11]
	v_add_f64 v[6:7], v[6:7], -v[10:11]
	v_add_f64 v[4:5], v[4:5], v[8:9]
	v_mul_f64 v[10:11], v[19:20], 0.5
	v_mul_f64 v[19:20], v[21:22], 0.5
	;; [unrolled: 1-line block ×3, first 2 shown]
	s_waitcnt vmcnt(1)
	v_mul_f64 v[8:9], v[10:11], v[17:18]
	v_fma_f64 v[21:22], v[19:20], v[17:18], v[6:7]
	v_fma_f64 v[17:18], v[19:20], v[17:18], -v[6:7]
	v_fma_f64 v[23:24], v[4:5], 0.5, v[8:9]
	v_fma_f64 v[8:9], v[4:5], 0.5, -v[8:9]
	v_add_co_u32_e32 v4, vcc, s4, v12
	v_addc_co_u32_e32 v5, vcc, 0, v13, vcc
	global_load_dwordx4 v[4:7], v[4:5], off offset:960
	v_fma_f64 v[12:13], -v[15:16], v[10:11], v[21:22]
	v_fma_f64 v[10:11], -v[15:16], v[10:11], v[17:18]
	v_fma_f64 v[17:18], v[19:20], v[15:16], v[23:24]
	v_fma_f64 v[8:9], -v[19:20], v[15:16], v[8:9]
	v_add_u32_e32 v15, 0x1000, v126
	ds_write2_b64 v15, v[17:18], v[12:13] offset0:60 offset1:61
	ds_write_b128 v14, v[8:11] offset:18304
	ds_read_b128 v[8:11], v126 offset:6864
	ds_read_b128 v[15:18], v14 offset:16016
	s_waitcnt lgkmcnt(0)
	v_add_f64 v[12:13], v[8:9], -v[15:16]
	v_add_f64 v[19:20], v[10:11], v[17:18]
	v_add_f64 v[10:11], v[10:11], -v[17:18]
	v_add_f64 v[8:9], v[8:9], v[15:16]
	v_mul_f64 v[12:13], v[12:13], 0.5
	v_mul_f64 v[17:18], v[19:20], 0.5
	;; [unrolled: 1-line block ×3, first 2 shown]
	s_waitcnt vmcnt(1)
	v_mul_f64 v[15:16], v[12:13], v[2:3]
	v_fma_f64 v[19:20], v[17:18], v[2:3], v[10:11]
	v_fma_f64 v[2:3], v[17:18], v[2:3], -v[10:11]
	v_fma_f64 v[10:11], v[8:9], 0.5, v[15:16]
	v_fma_f64 v[8:9], v[8:9], 0.5, -v[15:16]
	v_fma_f64 v[15:16], -v[0:1], v[12:13], v[19:20]
	v_fma_f64 v[2:3], -v[0:1], v[12:13], v[2:3]
	v_fma_f64 v[10:11], v[17:18], v[0:1], v[10:11]
	v_fma_f64 v[0:1], -v[17:18], v[0:1], v[8:9]
	v_add_u32_e32 v8, 0x1800, v126
	ds_write2_b64 v8, v[10:11], v[15:16] offset0:90 offset1:91
	ds_write_b128 v14, v[0:3] offset:16016
	ds_read_b128 v[0:3], v126 offset:9152
	ds_read_b128 v[8:11], v14 offset:13728
	s_waitcnt lgkmcnt(0)
	v_add_f64 v[12:13], v[0:1], -v[8:9]
	v_add_f64 v[15:16], v[2:3], v[10:11]
	v_add_f64 v[2:3], v[2:3], -v[10:11]
	v_add_f64 v[0:1], v[0:1], v[8:9]
	v_mul_f64 v[10:11], v[12:13], 0.5
	v_mul_f64 v[12:13], v[15:16], 0.5
	;; [unrolled: 1-line block ×3, first 2 shown]
	s_waitcnt vmcnt(0)
	v_mul_f64 v[8:9], v[10:11], v[6:7]
	v_fma_f64 v[15:16], v[12:13], v[6:7], v[2:3]
	v_fma_f64 v[2:3], v[12:13], v[6:7], -v[2:3]
	v_fma_f64 v[6:7], v[0:1], 0.5, v[8:9]
	v_fma_f64 v[0:1], v[0:1], 0.5, -v[8:9]
	v_fma_f64 v[8:9], -v[4:5], v[10:11], v[15:16]
	v_fma_f64 v[2:3], -v[4:5], v[10:11], v[2:3]
	v_fma_f64 v[6:7], v[12:13], v[4:5], v[6:7]
	v_fma_f64 v[0:1], -v[12:13], v[4:5], v[0:1]
	v_add_u32_e32 v4, 0x2000, v126
	ds_write2_b64 v4, v[6:7], v[8:9] offset0:120 offset1:121
	ds_write_b128 v14, v[0:3] offset:13728
	s_waitcnt lgkmcnt(0)
	s_barrier
	s_and_saveexec_b64 s[4:5], s[0:1]
	s_cbranch_execz .LBB0_26
; %bb.24:
	v_mul_lo_u32 v2, s3, v52
	v_mul_lo_u32 v3, s2, v53
	v_mad_u64_u32 v[0:1], s[0:1], s2, v52, 0
	v_mov_b32_e32 v6, s11
	v_lshl_add_u32 v12, v50, 4, 0
	v_add3_u32 v1, v1, v3, v2
	v_lshlrev_b64 v[0:1], 4, v[0:1]
	v_mov_b32_e32 v51, 0
	v_add_co_u32_e32 v0, vcc, s10, v0
	v_addc_co_u32_e32 v8, vcc, v6, v1, vcc
	v_lshlrev_b64 v[6:7], 4, v[48:49]
	ds_read_b128 v[2:5], v12
	v_add_co_u32_e32 v1, vcc, v0, v6
	v_addc_co_u32_e32 v0, vcc, v8, v7, vcc
	v_lshlrev_b64 v[6:7], 4, v[50:51]
	s_movk_i32 s0, 0x8e
	v_add_co_u32_e32 v10, vcc, v1, v6
	v_addc_co_u32_e32 v11, vcc, v0, v7, vcc
	ds_read_b128 v[6:9], v12 offset:2288
	s_waitcnt lgkmcnt(1)
	global_store_dwordx4 v[10:11], v[2:5], off
	s_nop 0
	v_add_u32_e32 v2, 0x8f, v50
	v_mov_b32_e32 v3, v51
	v_lshlrev_b64 v[2:3], 4, v[2:3]
	v_add_co_u32_e32 v2, vcc, v1, v2
	v_addc_co_u32_e32 v3, vcc, v0, v3, vcc
	s_waitcnt lgkmcnt(0)
	global_store_dwordx4 v[2:3], v[6:9], off
	ds_read_b128 v[2:5], v12 offset:4576
	v_add_u32_e32 v6, 0x11e, v50
	v_mov_b32_e32 v7, v51
	v_lshlrev_b64 v[6:7], 4, v[6:7]
	v_add_co_u32_e32 v10, vcc, v1, v6
	v_addc_co_u32_e32 v11, vcc, v0, v7, vcc
	ds_read_b128 v[6:9], v12 offset:6864
	s_waitcnt lgkmcnt(1)
	global_store_dwordx4 v[10:11], v[2:5], off
	s_nop 0
	v_add_u32_e32 v2, 0x1ad, v50
	v_mov_b32_e32 v3, v51
	v_lshlrev_b64 v[2:3], 4, v[2:3]
	v_add_co_u32_e32 v2, vcc, v1, v2
	v_addc_co_u32_e32 v3, vcc, v0, v3, vcc
	s_waitcnt lgkmcnt(0)
	global_store_dwordx4 v[2:3], v[6:9], off
	ds_read_b128 v[2:5], v12 offset:9152
	v_add_u32_e32 v6, 0x23c, v50
	v_mov_b32_e32 v7, v51
	v_lshlrev_b64 v[6:7], 4, v[6:7]
	;; [unrolled: 17-line block ×4, first 2 shown]
	v_add_co_u32_e32 v10, vcc, v1, v6
	v_addc_co_u32_e32 v11, vcc, v0, v7, vcc
	ds_read_b128 v[6:9], v12 offset:20592
	s_waitcnt lgkmcnt(1)
	global_store_dwordx4 v[10:11], v[2:5], off
	s_nop 0
	v_add_u32_e32 v2, 0x507, v50
	v_mov_b32_e32 v3, v51
	v_lshlrev_b64 v[2:3], 4, v[2:3]
	v_add_co_u32_e32 v2, vcc, v1, v2
	v_addc_co_u32_e32 v3, vcc, v0, v3, vcc
	v_cmp_eq_u32_e32 vcc, s0, v50
	s_waitcnt lgkmcnt(0)
	global_store_dwordx4 v[2:3], v[6:9], off
	s_and_b64 exec, exec, vcc
	s_cbranch_execz .LBB0_26
; %bb.25:
	ds_read_b128 v[2:5], v51 offset:22880
	v_add_co_u32_e32 v6, vcc, 0x5000, v1
	v_addc_co_u32_e32 v7, vcc, 0, v0, vcc
	s_waitcnt lgkmcnt(0)
	global_store_dwordx4 v[6:7], v[2:5], off offset:2400
.LBB0_26:
	s_endpgm
	.section	.rodata,"a",@progbits
	.p2align	6, 0x0
	.amdhsa_kernel fft_rtc_fwd_len1430_factors_13_11_10_wgs_143_tpt_143_dp_op_CI_CI_unitstride_sbrr_R2C_dirReg
		.amdhsa_group_segment_fixed_size 0
		.amdhsa_private_segment_fixed_size 0
		.amdhsa_kernarg_size 104
		.amdhsa_user_sgpr_count 6
		.amdhsa_user_sgpr_private_segment_buffer 1
		.amdhsa_user_sgpr_dispatch_ptr 0
		.amdhsa_user_sgpr_queue_ptr 0
		.amdhsa_user_sgpr_kernarg_segment_ptr 1
		.amdhsa_user_sgpr_dispatch_id 0
		.amdhsa_user_sgpr_flat_scratch_init 0
		.amdhsa_user_sgpr_private_segment_size 0
		.amdhsa_uses_dynamic_stack 0
		.amdhsa_system_sgpr_private_segment_wavefront_offset 0
		.amdhsa_system_sgpr_workgroup_id_x 1
		.amdhsa_system_sgpr_workgroup_id_y 0
		.amdhsa_system_sgpr_workgroup_id_z 0
		.amdhsa_system_sgpr_workgroup_info 0
		.amdhsa_system_vgpr_workitem_id 0
		.amdhsa_next_free_vgpr 167
		.amdhsa_next_free_sgpr 44
		.amdhsa_reserve_vcc 1
		.amdhsa_reserve_flat_scratch 0
		.amdhsa_float_round_mode_32 0
		.amdhsa_float_round_mode_16_64 0
		.amdhsa_float_denorm_mode_32 3
		.amdhsa_float_denorm_mode_16_64 3
		.amdhsa_dx10_clamp 1
		.amdhsa_ieee_mode 1
		.amdhsa_fp16_overflow 0
		.amdhsa_exception_fp_ieee_invalid_op 0
		.amdhsa_exception_fp_denorm_src 0
		.amdhsa_exception_fp_ieee_div_zero 0
		.amdhsa_exception_fp_ieee_overflow 0
		.amdhsa_exception_fp_ieee_underflow 0
		.amdhsa_exception_fp_ieee_inexact 0
		.amdhsa_exception_int_div_zero 0
	.end_amdhsa_kernel
	.text
.Lfunc_end0:
	.size	fft_rtc_fwd_len1430_factors_13_11_10_wgs_143_tpt_143_dp_op_CI_CI_unitstride_sbrr_R2C_dirReg, .Lfunc_end0-fft_rtc_fwd_len1430_factors_13_11_10_wgs_143_tpt_143_dp_op_CI_CI_unitstride_sbrr_R2C_dirReg
                                        ; -- End function
	.section	.AMDGPU.csdata,"",@progbits
; Kernel info:
; codeLenInByte = 12420
; NumSgprs: 48
; NumVgprs: 167
; ScratchSize: 0
; MemoryBound: 0
; FloatMode: 240
; IeeeMode: 1
; LDSByteSize: 0 bytes/workgroup (compile time only)
; SGPRBlocks: 5
; VGPRBlocks: 41
; NumSGPRsForWavesPerEU: 48
; NumVGPRsForWavesPerEU: 167
; Occupancy: 1
; WaveLimiterHint : 1
; COMPUTE_PGM_RSRC2:SCRATCH_EN: 0
; COMPUTE_PGM_RSRC2:USER_SGPR: 6
; COMPUTE_PGM_RSRC2:TRAP_HANDLER: 0
; COMPUTE_PGM_RSRC2:TGID_X_EN: 1
; COMPUTE_PGM_RSRC2:TGID_Y_EN: 0
; COMPUTE_PGM_RSRC2:TGID_Z_EN: 0
; COMPUTE_PGM_RSRC2:TIDIG_COMP_CNT: 0
	.type	__hip_cuid_2fe037b0645de785,@object ; @__hip_cuid_2fe037b0645de785
	.section	.bss,"aw",@nobits
	.globl	__hip_cuid_2fe037b0645de785
__hip_cuid_2fe037b0645de785:
	.byte	0                               ; 0x0
	.size	__hip_cuid_2fe037b0645de785, 1

	.ident	"AMD clang version 19.0.0git (https://github.com/RadeonOpenCompute/llvm-project roc-6.4.0 25133 c7fe45cf4b819c5991fe208aaa96edf142730f1d)"
	.section	".note.GNU-stack","",@progbits
	.addrsig
	.addrsig_sym __hip_cuid_2fe037b0645de785
	.amdgpu_metadata
---
amdhsa.kernels:
  - .args:
      - .actual_access:  read_only
        .address_space:  global
        .offset:         0
        .size:           8
        .value_kind:     global_buffer
      - .offset:         8
        .size:           8
        .value_kind:     by_value
      - .actual_access:  read_only
        .address_space:  global
        .offset:         16
        .size:           8
        .value_kind:     global_buffer
      - .actual_access:  read_only
        .address_space:  global
        .offset:         24
        .size:           8
        .value_kind:     global_buffer
      - .actual_access:  read_only
        .address_space:  global
        .offset:         32
        .size:           8
        .value_kind:     global_buffer
      - .offset:         40
        .size:           8
        .value_kind:     by_value
      - .actual_access:  read_only
        .address_space:  global
        .offset:         48
        .size:           8
        .value_kind:     global_buffer
      - .actual_access:  read_only
        .address_space:  global
        .offset:         56
        .size:           8
        .value_kind:     global_buffer
      - .offset:         64
        .size:           4
        .value_kind:     by_value
      - .actual_access:  read_only
        .address_space:  global
        .offset:         72
        .size:           8
        .value_kind:     global_buffer
      - .actual_access:  read_only
        .address_space:  global
        .offset:         80
        .size:           8
        .value_kind:     global_buffer
      - .actual_access:  read_only
        .address_space:  global
        .offset:         88
        .size:           8
        .value_kind:     global_buffer
      - .actual_access:  write_only
        .address_space:  global
        .offset:         96
        .size:           8
        .value_kind:     global_buffer
    .group_segment_fixed_size: 0
    .kernarg_segment_align: 8
    .kernarg_segment_size: 104
    .language:       OpenCL C
    .language_version:
      - 2
      - 0
    .max_flat_workgroup_size: 143
    .name:           fft_rtc_fwd_len1430_factors_13_11_10_wgs_143_tpt_143_dp_op_CI_CI_unitstride_sbrr_R2C_dirReg
    .private_segment_fixed_size: 0
    .sgpr_count:     48
    .sgpr_spill_count: 0
    .symbol:         fft_rtc_fwd_len1430_factors_13_11_10_wgs_143_tpt_143_dp_op_CI_CI_unitstride_sbrr_R2C_dirReg.kd
    .uniform_work_group_size: 1
    .uses_dynamic_stack: false
    .vgpr_count:     167
    .vgpr_spill_count: 0
    .wavefront_size: 64
amdhsa.target:   amdgcn-amd-amdhsa--gfx906
amdhsa.version:
  - 1
  - 2
...

	.end_amdgpu_metadata
